;; amdgpu-corpus repo=GPUOpen-LibrariesAndSDKs/Orochi kind=compiled arch=gfx1250 opt=O3
	.amdgcn_target "amdgcn-amd-amdhsa--gfx1250"
	.amdhsa_code_object_version 6
	.text
	.protected	SortSinglePassKernel    ; -- Begin function SortSinglePassKernel
	.globl	SortSinglePassKernel
	.p2align	8
	.type	SortSinglePassKernel,@function
SortSinglePassKernel:                   ; @SortSinglePassKernel
; %bb.0:
	s_bfe_u32 s2, ttmp6, 0x4000c
	s_and_b32 s3, ttmp6, 15
	s_add_co_i32 s2, s2, 1
	s_getreg_b32 s4, hwreg(HW_REG_IB_STS2, 6, 4)
	s_mul_i32 s2, ttmp9, s2
	s_delay_alu instid0(SALU_CYCLE_1) | instskip(SKIP_2) | instid1(SALU_CYCLE_1)
	s_add_co_i32 s3, s3, s2
	s_cmp_eq_u32 s4, 0
	s_cselect_b32 s2, ttmp9, s3
	s_cmp_lg_u32 s2, 0
	s_cbranch_scc0 .LBB0_2
.LBB0_1:
	s_sendmsg sendmsg(MSG_DEALLOC_VGPRS)
	s_endpgm
.LBB0_2:
	s_clause 0x1
	s_load_b96 s[36:38], s[0:1], 0x10
	s_load_b128 s[28:31], s[0:1], 0x0
	v_mul_u32_u24_e32 v5, 24, v0
	v_dual_mov_b32 v23, -1 :: v_dual_mov_b32 v22, -1
	s_wait_kmcnt 0x0
	s_delay_alu instid0(VALU_DEP_2)
	v_cmp_gt_i32_e32 vcc_lo, s36, v5
	s_and_saveexec_b32 s0, vcc_lo
	s_cbranch_execz .LBB0_4
; %bb.3:
	global_load_b32 v22, v5, s[28:29] scale_offset
.LBB0_4:
	s_wait_xcnt 0x0
	s_or_b32 exec_lo, exec_lo, s0
	v_dual_lshlrev_b32 v1, 2, v5 :: v_dual_bitop2_b32 v2, 1, v5 bitop3:0x54
	s_delay_alu instid0(VALU_DEP_1)
	v_cmp_gt_i32_e64 s0, s36, v2
	s_wait_loadcnt 0x0
	ds_store_b32 v1, v22
	s_and_saveexec_b32 s1, s0
	s_cbranch_execz .LBB0_6
; %bb.5:
	global_load_b32 v23, v5, s[28:29] offset:4 scale_offset
.LBB0_6:
	s_wait_xcnt 0x0
	s_or_b32 exec_lo, exec_lo, s1
	v_dual_mov_b32 v25, -1 :: v_dual_bitop2_b32 v2, 2, v5 bitop3:0x54
	v_mov_b32_e32 v24, -1
	s_wait_loadcnt 0x0
	ds_store_b32 v1, v23 offset:4
	v_cmp_gt_i32_e64 s1, s36, v2
	s_and_saveexec_b32 s2, s1
	s_cbranch_execz .LBB0_8
; %bb.7:
	global_load_b32 v24, v5, s[28:29] offset:8 scale_offset
.LBB0_8:
	s_wait_xcnt 0x0
	s_or_b32 exec_lo, exec_lo, s2
	v_or_b32_e32 v2, 3, v5
	s_wait_loadcnt 0x0
	ds_store_b32 v1, v24 offset:8
	v_cmp_gt_i32_e64 s2, s36, v2
	s_and_saveexec_b32 s3, s2
	s_cbranch_execz .LBB0_10
; %bb.9:
	global_load_b32 v25, v5, s[28:29] offset:12 scale_offset
.LBB0_10:
	s_wait_xcnt 0x0
	s_or_b32 exec_lo, exec_lo, s3
	v_dual_mov_b32 v19, -1 :: v_dual_bitop2_b32 v2, 4, v5 bitop3:0x54
	v_mov_b32_e32 v18, -1
	s_wait_loadcnt 0x0
	ds_store_b32 v1, v25 offset:12
	v_cmp_gt_i32_e64 s3, s36, v2
	s_and_saveexec_b32 s4, s3
	s_cbranch_execz .LBB0_12
; %bb.11:
	global_load_b32 v18, v5, s[28:29] offset:16 scale_offset
.LBB0_12:
	s_wait_xcnt 0x0
	s_or_b32 exec_lo, exec_lo, s4
	v_or_b32_e32 v2, 5, v5
	s_wait_loadcnt 0x0
	ds_store_b32 v1, v18 offset:16
	v_cmp_gt_i32_e64 s4, s36, v2
	;; [unrolled: 23-line block ×3, first 2 shown]
	s_and_saveexec_b32 s7, s6
	s_cbranch_execz .LBB0_18
; %bb.17:
	global_load_b32 v21, v5, s[28:29] offset:28 scale_offset
.LBB0_18:
	s_wait_xcnt 0x0
	s_or_b32 exec_lo, exec_lo, s7
	v_dual_mov_b32 v15, -1 :: v_dual_add_nc_u32 v2, 8, v5
	v_mov_b32_e32 v14, -1
	s_wait_loadcnt 0x0
	ds_store_b32 v1, v21 offset:28
	v_cmp_gt_i32_e64 s7, s36, v2
	s_and_saveexec_b32 s8, s7
	s_cbranch_execz .LBB0_20
; %bb.19:
	global_load_b32 v14, v5, s[28:29] offset:32 scale_offset
.LBB0_20:
	s_wait_xcnt 0x0
	s_or_b32 exec_lo, exec_lo, s8
	v_add_nc_u32_e32 v2, 9, v5
	s_wait_loadcnt 0x0
	ds_store_b32 v1, v14 offset:32
	v_cmp_gt_i32_e64 s8, s36, v2
	s_and_saveexec_b32 s9, s8
	s_cbranch_execz .LBB0_22
; %bb.21:
	global_load_b32 v15, v5, s[28:29] offset:36 scale_offset
.LBB0_22:
	s_wait_xcnt 0x0
	s_or_b32 exec_lo, exec_lo, s9
	v_dual_mov_b32 v17, -1 :: v_dual_add_nc_u32 v2, 10, v5
	v_mov_b32_e32 v16, -1
	s_wait_loadcnt 0x0
	ds_store_b32 v1, v15 offset:36
	v_cmp_gt_i32_e64 s9, s36, v2
	s_and_saveexec_b32 s10, s9
	s_cbranch_execz .LBB0_24
; %bb.23:
	global_load_b32 v16, v5, s[28:29] offset:40 scale_offset
.LBB0_24:
	s_wait_xcnt 0x0
	s_or_b32 exec_lo, exec_lo, s10
	v_add_nc_u32_e32 v2, 11, v5
	s_wait_loadcnt 0x0
	ds_store_b32 v1, v16 offset:40
	v_cmp_gt_i32_e64 s10, s36, v2
	;; [unrolled: 23-line block ×6, first 2 shown]
	s_and_saveexec_b32 s19, s18
	s_cbranch_execz .LBB0_42
; %bb.41:
	global_load_b32 v9, v5, s[28:29] offset:76 scale_offset
.LBB0_42:
	s_wait_xcnt 0x0
	s_or_b32 exec_lo, exec_lo, s19
	v_dual_mov_b32 v3, -1 :: v_dual_add_nc_u32 v2, 20, v5
	s_wait_loadcnt 0x0
	ds_store_b32 v1, v9 offset:76
	v_cmp_gt_i32_e64 s19, s36, v2
	v_mov_b32_e32 v2, -1
	s_and_saveexec_b32 s20, s19
	s_cbranch_execz .LBB0_44
; %bb.43:
	global_load_b32 v2, v5, s[28:29] offset:80 scale_offset
.LBB0_44:
	s_wait_xcnt 0x0
	s_or_b32 exec_lo, exec_lo, s20
	v_add_nc_u32_e32 v4, 21, v5
	s_wait_loadcnt 0x0
	ds_store_b32 v1, v2 offset:80
	v_cmp_gt_i32_e64 s20, s36, v4
	s_and_saveexec_b32 s21, s20
	s_cbranch_execz .LBB0_46
; %bb.45:
	global_load_b32 v3, v5, s[28:29] offset:84 scale_offset
.LBB0_46:
	s_wait_xcnt 0x0
	s_or_b32 exec_lo, exec_lo, s21
	v_dual_add_nc_u32 v4, 22, v5 :: v_dual_mov_b32 v26, v5
	v_mov_b32_e32 v5, -1
	s_wait_loadcnt 0x0
	ds_store_b32 v1, v3 offset:84
	v_cmp_gt_i32_e64 s21, s36, v4
	v_mov_b32_e32 v4, -1
	s_and_saveexec_b32 s22, s21
	s_cbranch_execz .LBB0_48
; %bb.47:
	global_load_b32 v4, v26, s[28:29] offset:88 scale_offset
.LBB0_48:
	s_wait_xcnt 0x0
	s_or_b32 exec_lo, exec_lo, s22
	scratch_store_b32 off, v26, off offset:28 ; 4-byte Folded Spill
	s_wait_xcnt 0x0
	v_add_nc_u32_e32 v26, 23, v26
	s_wait_loadcnt 0x0
	ds_store_b32 v1, v4 offset:88
	v_cmp_gt_i32_e64 s22, s36, v26
	s_and_saveexec_b32 s23, s22
	s_cbranch_execz .LBB0_50
; %bb.49:
	v_mul_u32_u24_e32 v5, 24, v0
	global_load_b32 v5, v5, s[28:29] offset:92 scale_offset
.LBB0_50:
	s_wait_xcnt 0x0
	s_or_b32 exec_lo, exec_lo, s23
	s_cmp_lt_i32 s37, s38
	s_wait_loadcnt 0x0
	ds_store_b32 v1, v5 offset:92
	s_wait_storecnt_dscnt 0x0
	s_barrier_signal -1
	s_barrier_wait -1
	s_cbranch_scc0 .LBB0_149
; %bb.51:
	v_dual_lshlrev_b32 v33, 3, v0 :: v_dual_lshlrev_b32 v1, 1, v0
	s_mov_b32 s34, 0
	v_lshl_add_u32 v34, v0, 5, 0x3000
	s_mov_b32 s35, s34
	v_cmp_gt_u32_e64 s23, 64, v0
	v_dual_add_nc_u32 v1, 2, v1 :: v_dual_bitop2_b32 v26, 1, v1 bitop3:0x54
	v_cmp_gt_u32_e64 s24, 32, v0
	v_cmp_gt_u32_e64 s25, 16, v0
	;; [unrolled: 1-line block ×3, first 2 shown]
	s_delay_alu instid0(VALU_DEP_4)
	v_lshlrev_b32_e32 v28, 2, v26
	v_cmp_gt_u32_e64 s27, 4, v0
	v_cmp_gt_u32_e64 s28, 2, v0
	v_cmp_eq_u32_e64 s29, 0, v0
	v_dual_lshlrev_b32 v36, 4, v1 :: v_dual_lshlrev_b32 v37, 4, v26
	v_dual_lshlrev_b32 v38, 5, v1 :: v_dual_lshlrev_b32 v39, 5, v26
	;; [unrolled: 1-line block ×5, first 2 shown]
	v_mul_i32_i24_e32 v27, 0xffffffe4, v0
	v_lshlrev_b32_e32 v26, 3, v26
	scratch_store_b32 off, v28, off         ; 4-byte Folded Spill
	s_wait_xcnt 0x0
	v_dual_lshlrev_b32 v28, 2, v1 :: v_dual_lshlrev_b32 v127, 3, v1
	v_mul_u32_u24_e32 v50, 0x60, v0
	v_mov_b64_e32 v[0:1], s[34:35]
	s_mov_b32 s40, s34
	s_mov_b32 s41, s34
	scratch_store_b32 off, v28, off offset:4 ; 4-byte Folded Spill
	s_wait_xcnt 0x0
	v_mov_b64_e32 v[28:29], 0
	v_add_nc_u32_e32 v35, 0x4020, v33
	v_dual_mov_b32 v51, 0 :: v_dual_add_nc_u32 v52, v34, v27
	scratch_store_b64 off, v[0:1], off offset:12 ; 8-byte Folded Spill
	s_wait_xcnt 0x0
	v_mov_b64_e32 v[0:1], s[40:41]
	s_clause 0x1
	scratch_store_b32 off, v26, off offset:8
	scratch_store_b64 off, v[0:1], off offset:20
	s_branch .LBB0_53
.LBB0_52:                               ;   in Loop: Header=BB0_53 Depth=1
	s_or_b32 exec_lo, exec_lo, s33
	s_wait_dscnt 0x0
	s_barrier_signal -1
	s_barrier_wait -1
	s_barrier_signal -1
	s_barrier_wait -1
	;; [unrolled: 2-line block ×3, first 2 shown]
	ds_load_u16 v24, v54
	v_lshl_or_b32 v25, v53, 3, v58
	s_add_co_i32 s37, s37, 8
	s_delay_alu instid0(SALU_CYCLE_1) | instskip(SKIP_4) | instid1(VALU_DEP_2)
	s_cmp_ge_i32 s37, s38
	ds_load_u16 v25, v25 offset:16384
	s_wait_dscnt 0x1
	v_and_b32_e32 v26, 0xffff, v24
	v_add_nc_u16 v24, v24, 1
	v_lshlrev_b32_e32 v26, 2, v26
	s_wait_dscnt 0x0
	s_delay_alu instid0(VALU_DEP_1)
	v_lshl_add_u32 v25, v25, 2, v26
	ds_store_b16 v54, v24
	ds_load_u16 v24, v55
	v_lshl_or_b32 v26, v59, 3, v60
	ds_store_b32 v25, v4
	v_lshl_or_b32 v25, v62, 3, v66
	ds_load_u16 v26, v26 offset:16384
	s_wait_dscnt 0x2
	v_and_b32_e32 v27, 0xffff, v24
	v_add_nc_u16 v24, v24, 1
	s_delay_alu instid0(VALU_DEP_2) | instskip(SKIP_1) | instid1(VALU_DEP_1)
	v_lshlrev_b32_e32 v27, 2, v27
	s_wait_dscnt 0x0
	v_lshl_add_u32 v4, v26, 2, v27
	ds_store_b16 v55, v24
	ds_load_u16 v24, v57
	ds_load_u16 v25, v25 offset:16384
	ds_store_b32 v4, v5
	s_wait_dscnt 0x2
	v_and_b32_e32 v26, 0xffff, v24
	v_add_nc_u16 v24, v24, 1
	s_delay_alu instid0(VALU_DEP_2)
	v_lshlrev_b32_e32 v26, 2, v26
	ds_store_b16 v57, v24
	ds_load_u16 v5, v56
	v_lshl_or_b32 v24, v61, 3, v64
	s_wait_dscnt 0x3
	v_lshl_add_u32 v4, v25, 2, v26
	ds_load_u16 v24, v24 offset:16384
	s_wait_dscnt 0x1
	v_and_b32_e32 v25, 0xffff, v5
	v_add_nc_u16 v5, v5, 1
	ds_store_b32 v4, v6
	v_lshl_or_b32 v6, v69, 3, v71
	v_lshlrev_b32_e32 v25, 2, v25
	ds_store_b16 v56, v5
	ds_load_u16 v5, v65
	ds_load_u16 v6, v6 offset:16384
	s_wait_dscnt 0x4
	v_lshl_add_u32 v4, v24, 2, v25
	s_wait_dscnt 0x1
	v_and_b32_e32 v24, 0xffff, v5
	v_add_nc_u16 v5, v5, 1
	ds_store_b32 v4, v7
	v_lshlrev_b32_e32 v24, 2, v24
	ds_store_b16 v65, v5
	ds_load_u16 v5, v63
	s_wait_dscnt 0x3
	v_lshl_add_u32 v4, v6, 2, v24
	v_lshl_or_b32 v6, v68, 3, v70
	ds_store_b32 v4, v0
	ds_load_u16 v6, v6 offset:16384
	s_wait_dscnt 0x2
	v_and_b32_e32 v7, 0xffff, v5
	v_add_nc_u16 v5, v5, 1
	s_delay_alu instid0(VALU_DEP_2) | instskip(SKIP_1) | instid1(VALU_DEP_1)
	v_lshlrev_b32_e32 v7, 2, v7
	s_wait_dscnt 0x0
	v_lshl_add_u32 v0, v6, 2, v7
	ds_store_b16 v63, v5
	ds_load_u16 v4, v67
	v_lshl_or_b32 v5, v72, 3, v74
	ds_store_b32 v0, v1
	ds_load_u16 v5, v5 offset:16384
	s_wait_dscnt 0x2
	v_and_b32_e32 v6, 0xffff, v4
	v_add_nc_u16 v4, v4, 1
	s_delay_alu instid0(VALU_DEP_2) | instskip(SKIP_1) | instid1(VALU_DEP_1)
	v_lshlrev_b32_e32 v6, 2, v6
	s_wait_dscnt 0x0
	v_lshl_add_u32 v0, v5, 2, v6
	ds_store_b16 v67, v4
	ds_load_u16 v1, v73
	v_lshl_or_b32 v4, v75, 3, v76
	ds_store_b32 v0, v2
	v_lshl_or_b32 v2, v97, 3, v98
	ds_load_u16 v4, v4 offset:16384
	s_wait_dscnt 0x2
	v_and_b32_e32 v5, 0xffff, v1
	v_add_nc_u16 v1, v1, 1
	s_delay_alu instid0(VALU_DEP_2) | instskip(SKIP_1) | instid1(VALU_DEP_1)
	v_lshlrev_b32_e32 v5, 2, v5
	s_wait_dscnt 0x0
	v_lshl_add_u32 v0, v4, 2, v5
	ds_store_b16 v73, v1
	ds_load_u16 v1, v92
	ds_load_u16 v2, v2 offset:16384
	ds_store_b32 v0, v3
	s_wait_dscnt 0x2
	v_and_b32_e32 v4, 0xffff, v1
	v_add_nc_u16 v1, v1, 1
	s_delay_alu instid0(VALU_DEP_2)
	v_lshlrev_b32_e32 v4, 2, v4
	ds_store_b16 v92, v1
	ds_load_u16 v1, v84
	s_wait_dscnt 0x3
	v_lshl_add_u32 v0, v2, 2, v4
	v_lshl_or_b32 v2, v94, 3, v96
	ds_load_u16 v2, v2 offset:16384
	s_wait_dscnt 0x1
	v_and_b32_e32 v3, 0xffff, v1
	v_add_nc_u16 v1, v1, 1
	ds_store_b32 v0, v12
	v_lshlrev_b32_e32 v3, 2, v3
	ds_store_b16 v84, v1
	ds_load_u16 v1, v78
	s_wait_dscnt 0x3
	v_lshl_add_u32 v0, v2, 2, v3
	v_lshl_or_b32 v2, v86, 3, v88
	ds_load_u16 v2, v2 offset:16384
	s_wait_dscnt 0x1
	v_and_b32_e32 v3, 0xffff, v1
	v_add_nc_u16 v1, v1, 1
	ds_store_b32 v0, v13
	;; [unrolled: 11-line block ×14, first 2 shown]
	v_lshlrev_b32_e32 v3, 2, v3
	ds_store_b16 v108, v1
	ds_load_u16 v1, v106
	s_wait_dscnt 0x3
	v_lshl_add_u32 v0, v2, 2, v3
	v_lshl_or_b32 v2, v115, 3, v119
	ds_load_u16 v2, v2 offset:16384
	s_wait_dscnt 0x1
	v_and_b32_e32 v3, 0xffff, v1
	v_add_nc_u16 v1, v1, 1
	s_delay_alu instid0(VALU_DEP_2) | instskip(SKIP_1) | instid1(VALU_DEP_1)
	v_lshlrev_b32_e32 v3, 2, v3
	s_wait_dscnt 0x0
	v_lshl_add_u32 v2, v2, 2, v3
	ds_store_b32 v0, v22
	ds_store_b16 v106, v1
	ds_store_b32 v2, v23
	s_wait_dscnt 0x0
	s_barrier_signal -1
	s_barrier_wait -1
	ds_load_b128 v[22:25], v50
	ds_load_b128 v[18:21], v50 offset:16
	ds_load_b128 v[14:17], v50 offset:32
	;; [unrolled: 1-line block ×5, first 2 shown]
	s_cbranch_scc1 .LBB0_149
.LBB0_53:                               ; =>This Loop Header: Depth=1
                                        ;     Child Loop BB0_55 Depth 2
                                        ;     Child Loop BB0_103 Depth 2
	s_wait_xcnt 0x0
	s_wait_dscnt 0x5
	v_ashrrev_i32_e32 v0, s37, v22
	s_mov_b32 s33, 0
	s_delay_alu instid0(VALU_DEP_1) | instskip(NEXT) | instid1(VALU_DEP_1)
	v_bfe_u32 v122, v0, 2, 2
	v_dual_lshlrev_b32 v1, 3, v122 :: v_dual_bitop2_b32 v0, 3, v0 bitop3:0x40
	s_delay_alu instid0(VALU_DEP_1) | instskip(NEXT) | instid1(VALU_DEP_1)
	v_lshlrev_b32_e32 v124, 1, v0
	v_add3_u32 v119, v34, v1, v124
	s_clause 0x1
	scratch_load_b64 v[0:1], off, off offset:12
	scratch_load_b64 v[26:27], off, off offset:20
	s_wait_loadcnt 0x0
	ds_store_2addr_b64 v34, v[0:1], v[26:27] offset1:1
	ds_store_2addr_b64 v34, v[0:1], v[26:27] offset0:2 offset1:3
	ds_load_u16 v0, v119
	v_ashrrev_i32_e32 v1, s37, v23
	s_delay_alu instid0(VALU_DEP_1) | instskip(NEXT) | instid1(VALU_DEP_1)
	v_bfe_u32 v120, v1, 2, 2
	v_dual_lshlrev_b32 v26, 3, v120 :: v_dual_bitop2_b32 v1, 3, v1 bitop3:0x40
	s_delay_alu instid0(VALU_DEP_1) | instskip(NEXT) | instid1(VALU_DEP_1)
	v_dual_lshlrev_b32 v123, 1, v1 :: v_dual_ashrrev_i32 v1, s37, v24
	v_add3_u32 v116, v34, v26, v123
	s_delay_alu instid0(VALU_DEP_2) | instskip(SKIP_2) | instid1(VALU_DEP_2)
	v_bfe_u32 v117, v1, 2, 2
	s_wait_dscnt 0x0
	v_add_nc_u16 v0, v0, 1
	v_lshlrev_b32_e32 v26, 3, v117
	v_and_b32_e32 v1, 3, v1
	ds_store_b16 v119, v0
	ds_load_u16 v0, v116
	v_lshlrev_b32_e32 v121, 1, v1
	v_ashrrev_i32_e32 v1, s37, v25
	s_delay_alu instid0(VALU_DEP_1) | instskip(SKIP_1) | instid1(VALU_DEP_4)
	v_bfe_u32 v114, v1, 2, 2
	v_and_b32_e32 v1, 3, v1
	v_add3_u32 v113, v34, v26, v121
	s_delay_alu instid0(VALU_DEP_2) | instskip(SKIP_1) | instid1(VALU_DEP_2)
	v_dual_lshlrev_b32 v26, 3, v114 :: v_dual_lshlrev_b32 v118, 1, v1
	v_ashrrev_i32_e32 v1, s37, v18
	v_add3_u32 v110, v34, v26, v118
	s_wait_dscnt 0x0
	v_add_nc_u16 v0, v0, 1
	s_delay_alu instid0(VALU_DEP_3)
	v_bfe_u32 v111, v1, 2, 2
	v_and_b32_e32 v1, 3, v1
	ds_store_b16 v116, v0
	ds_load_u16 v0, v113
	v_dual_lshlrev_b32 v26, 3, v111 :: v_dual_lshlrev_b32 v115, 1, v1
	v_ashrrev_i32_e32 v1, s37, v19
	s_delay_alu instid0(VALU_DEP_2) | instskip(NEXT) | instid1(VALU_DEP_2)
	v_add3_u32 v107, v34, v26, v115
	v_bfe_u32 v108, v1, 2, 2
	s_delay_alu instid0(VALU_DEP_1) | instskip(NEXT) | instid1(VALU_DEP_1)
	v_dual_lshlrev_b32 v26, 3, v108 :: v_dual_bitop2_b32 v1, 3, v1 bitop3:0x40
	v_dual_lshlrev_b32 v112, 1, v1 :: v_dual_ashrrev_i32 v1, s37, v20
	s_delay_alu instid0(VALU_DEP_1) | instskip(SKIP_2) | instid1(VALU_DEP_3)
	v_add3_u32 v104, v34, v26, v112
	s_wait_dscnt 0x0
	v_add_nc_u16 v0, v0, 1
	v_bfe_u32 v105, v1, 2, 2
	v_and_b32_e32 v1, 3, v1
	ds_store_b16 v113, v0
	ds_load_u16 v0, v110
	v_lshlrev_b32_e32 v109, 1, v1
	v_ashrrev_i32_e32 v1, s37, v21
	v_lshlrev_b32_e32 v26, 3, v105
	s_delay_alu instid0(VALU_DEP_2) | instskip(SKIP_1) | instid1(VALU_DEP_1)
	v_bfe_u32 v102, v1, 2, 2
	v_and_b32_e32 v1, 3, v1
	v_dual_lshlrev_b32 v106, 1, v1 :: v_dual_ashrrev_i32 v1, s37, v14
	s_delay_alu instid0(VALU_DEP_4) | instskip(NEXT) | instid1(VALU_DEP_4)
	v_add3_u32 v101, v34, v26, v109
	v_lshlrev_b32_e32 v26, 3, v102
	s_delay_alu instid0(VALU_DEP_3)
	v_bfe_u32 v99, v1, 2, 2
	s_wait_dscnt 0x0
	v_add_nc_u16 v0, v0, 1
	v_and_b32_e32 v1, 3, v1
	v_add3_u32 v98, v34, v26, v106
	v_lshlrev_b32_e32 v26, 3, v99
	ds_store_b16 v110, v0
	ds_load_u16 v0, v107
	v_dual_lshlrev_b32 v103, 1, v1 :: v_dual_ashrrev_i32 v1, s37, v15
	s_delay_alu instid0(VALU_DEP_1) | instskip(NEXT) | instid1(VALU_DEP_2)
	v_add3_u32 v92, v34, v26, v103
	v_bfe_u32 v95, v1, 2, 2
	s_delay_alu instid0(VALU_DEP_1) | instskip(NEXT) | instid1(VALU_DEP_1)
	v_dual_lshlrev_b32 v26, 3, v95 :: v_dual_bitop2_b32 v1, 3, v1 bitop3:0x40
	v_dual_lshlrev_b32 v100, 1, v1 :: v_dual_ashrrev_i32 v1, s37, v16
	s_delay_alu instid0(VALU_DEP_1) | instskip(NEXT) | instid1(VALU_DEP_2)
	v_add3_u32 v85, v34, v26, v100
	v_and_b32_e32 v26, 3, v1
	s_wait_dscnt 0x0
	v_add_nc_u16 v0, v0, 1
	v_bfe_u32 v93, v1, 2, 2
	s_delay_alu instid0(VALU_DEP_3) | instskip(SKIP_3) | instid1(VALU_DEP_1)
	v_lshlrev_b32_e32 v97, 1, v26
	ds_store_b16 v107, v0
	ds_load_u16 v0, v104
	v_lshlrev_b32_e32 v1, 3, v93
	v_add3_u32 v82, v34, v1, v97
	v_ashrrev_i32_e32 v1, s37, v17
	s_delay_alu instid0(VALU_DEP_1) | instskip(SKIP_1) | instid1(VALU_DEP_2)
	v_and_b32_e32 v26, 3, v1
	v_bfe_u32 v90, v1, 2, 2
	v_lshlrev_b32_e32 v96, 1, v26
	s_delay_alu instid0(VALU_DEP_2) | instskip(SKIP_2) | instid1(VALU_DEP_2)
	v_lshlrev_b32_e32 v1, 3, v90
	s_wait_dscnt 0x0
	v_add_nc_u16 v0, v0, 1
	v_add3_u32 v79, v34, v1, v96
	v_ashrrev_i32_e32 v1, s37, v10
	ds_store_b16 v104, v0
	ds_load_u16 v0, v101
	v_bfe_u32 v32, v1, 2, 2
	s_delay_alu instid0(VALU_DEP_1) | instskip(NEXT) | instid1(VALU_DEP_1)
	v_dual_lshlrev_b32 v1, 3, v32 :: v_dual_bitop2_b32 v26, 3, v1 bitop3:0x40
	v_lshlrev_b32_e32 v94, 1, v26
	s_delay_alu instid0(VALU_DEP_1) | instskip(SKIP_1) | instid1(VALU_DEP_1)
	v_add3_u32 v76, v34, v1, v94
	v_ashrrev_i32_e32 v1, s37, v11
	v_and_b32_e32 v26, 3, v1
	s_wait_dscnt 0x0
	v_add_nc_u16 v0, v0, 1
	s_delay_alu instid0(VALU_DEP_2) | instskip(SKIP_3) | instid1(VALU_DEP_1)
	v_lshlrev_b32_e32 v91, 1, v26
	ds_store_b16 v101, v0
	ds_load_u16 v0, v98
	v_bfe_u32 v30, v1, 2, 2
	v_lshlrev_b32_e32 v1, 3, v30
	s_delay_alu instid0(VALU_DEP_1) | instskip(SKIP_1) | instid1(VALU_DEP_1)
	v_add3_u32 v73, v34, v1, v91
	v_ashrrev_i32_e32 v1, s37, v12
	v_and_b32_e32 v26, 3, v1
	s_wait_dscnt 0x0
	v_add_nc_u16 v0, v0, 1
	s_delay_alu instid0(VALU_DEP_2) | instskip(SKIP_4) | instid1(VALU_DEP_1)
	v_lshlrev_b32_e32 v126, 1, v26
	v_bfe_u32 v83, v1, 2, 2
	ds_store_b16 v98, v0
	ds_load_u16 v0, v92
	v_lshlrev_b32_e32 v1, 3, v83
	v_add3_u32 v70, v34, v1, v126
	v_ashrrev_i32_e32 v1, s37, v13
	s_delay_alu instid0(VALU_DEP_1) | instskip(NEXT) | instid1(VALU_DEP_1)
	v_and_b32_e32 v26, 3, v1
	v_lshlrev_b32_e32 v31, 1, v26
	v_bfe_u32 v80, v1, 2, 2
	s_wait_dscnt 0x0
	v_add_nc_u16 v0, v0, 1
	s_delay_alu instid0(VALU_DEP_2) | instskip(SKIP_4) | instid1(VALU_DEP_1)
	v_lshlrev_b32_e32 v1, 3, v80
	ds_store_b16 v92, v0
	ds_load_u16 v0, v85
	v_add3_u32 v67, v34, v1, v31
	v_ashrrev_i32_e32 v1, s37, v6
	v_and_b32_e32 v26, 3, v1
	v_bfe_u32 v77, v1, 2, 2
	s_delay_alu instid0(VALU_DEP_1) | instskip(SKIP_2) | instid1(VALU_DEP_2)
	v_dual_lshlrev_b32 v84, 1, v26 :: v_dual_lshlrev_b32 v1, 3, v77
	s_wait_dscnt 0x0
	v_add_nc_u16 v0, v0, 1
	v_add3_u32 v64, v34, v1, v84
	v_ashrrev_i32_e32 v1, s37, v7
	ds_store_b16 v85, v0
	ds_load_u16 v0, v82
	v_bfe_u32 v74, v1, 2, 2
	s_delay_alu instid0(VALU_DEP_1) | instskip(NEXT) | instid1(VALU_DEP_1)
	v_dual_lshlrev_b32 v1, 3, v74 :: v_dual_bitop2_b32 v26, 3, v1 bitop3:0x40
	v_lshlrev_b32_e32 v81, 1, v26
	s_delay_alu instid0(VALU_DEP_1) | instskip(SKIP_1) | instid1(VALU_DEP_1)
	v_add3_u32 v61, v34, v1, v81
	v_ashrrev_i32_e32 v1, s37, v8
	v_bfe_u32 v71, v1, 2, 2
	v_and_b32_e32 v26, 3, v1
	s_wait_dscnt 0x0
	v_add_nc_u16 v0, v0, 1
	s_delay_alu instid0(VALU_DEP_2) | instskip(SKIP_4) | instid1(VALU_DEP_1)
	v_dual_lshlrev_b32 v1, 3, v71 :: v_dual_lshlrev_b32 v78, 1, v26
	ds_store_b16 v82, v0
	ds_load_u16 v0, v79
	v_add3_u32 v59, v34, v1, v78
	v_ashrrev_i32_e32 v1, s37, v9
	v_bfe_u32 v68, v1, 2, 2
	s_delay_alu instid0(VALU_DEP_1) | instskip(NEXT) | instid1(VALU_DEP_1)
	v_dual_lshlrev_b32 v1, 3, v68 :: v_dual_bitop2_b32 v26, 3, v1 bitop3:0x40
	v_lshlrev_b32_e32 v75, 1, v26
	s_wait_dscnt 0x0
	v_add_nc_u16 v0, v0, 1
	s_delay_alu instid0(VALU_DEP_2)
	v_add3_u32 v57, v34, v1, v75
	v_ashrrev_i32_e32 v1, s37, v2
	ds_store_b16 v79, v0
	ds_load_u16 v0, v76
	v_and_b32_e32 v26, 3, v1
	v_bfe_u32 v65, v1, 2, 2
	s_delay_alu instid0(VALU_DEP_1) | instskip(NEXT) | instid1(VALU_DEP_1)
	v_dual_lshlrev_b32 v72, 1, v26 :: v_dual_lshlrev_b32 v1, 3, v65
	v_add3_u32 v56, v34, v1, v72
	v_ashrrev_i32_e32 v1, s37, v3
	s_delay_alu instid0(VALU_DEP_1) | instskip(SKIP_2) | instid1(VALU_DEP_2)
	v_and_b32_e32 v26, 3, v1
	s_wait_dscnt 0x0
	v_add_nc_u16 v0, v0, 1
	v_lshlrev_b32_e32 v69, 1, v26
	v_bfe_u32 v62, v1, 2, 2
	ds_store_b16 v76, v0
	ds_load_u16 v0, v73
	v_lshlrev_b32_e32 v1, 3, v62
	s_delay_alu instid0(VALU_DEP_1) | instskip(SKIP_1) | instid1(VALU_DEP_1)
	v_add3_u32 v55, v34, v1, v69
	v_ashrrev_i32_e32 v1, s37, v4
	v_and_b32_e32 v26, 3, v1
	s_delay_alu instid0(VALU_DEP_1)
	v_lshlrev_b32_e32 v66, 1, v26
	s_wait_dscnt 0x0
	v_add_nc_u16 v0, v0, 1
	v_bfe_u32 v60, v1, 2, 2
	ds_store_b16 v73, v0
	ds_load_u16 v0, v70
	v_lshlrev_b32_e32 v1, 3, v60
	s_delay_alu instid0(VALU_DEP_1) | instskip(SKIP_1) | instid1(VALU_DEP_1)
	v_add3_u32 v54, v34, v1, v66
	v_ashrrev_i32_e32 v1, s37, v5
	v_and_b32_e32 v26, 3, v1
	s_delay_alu instid0(VALU_DEP_1) | instskip(SKIP_3) | instid1(VALU_DEP_2)
	v_lshlrev_b32_e32 v63, 1, v26
	v_bfe_u32 v58, v1, 2, 2
	s_wait_dscnt 0x0
	v_add_nc_u16 v0, v0, 1
	v_lshlrev_b32_e32 v1, 3, v58
	ds_store_b16 v70, v0
	ds_load_u16 v0, v67
	v_add3_u32 v53, v34, v1, v63
	s_wait_dscnt 0x0
	v_add_nc_u16 v0, v0, 1
	ds_store_b16 v67, v0
	ds_load_u16 v0, v64
	s_wait_dscnt 0x0
	v_add_nc_u16 v0, v0, 1
	ds_store_b16 v64, v0
	ds_load_u16 v0, v61
	;; [unrolled: 4-line block ×8, first 2 shown]
	s_wait_dscnt 0x0
	v_add_nc_u16 v0, v0, 1
	ds_store_b16 v53, v0
	s_wait_storecnt_dscnt 0x0
	s_barrier_signal -1
	s_barrier_wait -1
	s_branch .LBB0_55
.LBB0_54:                               ;   in Loop: Header=BB0_55 Depth=2
	s_or_b32 exec_lo, exec_lo, s34
	s_add_co_i32 s33, s33, 8
	s_delay_alu instid0(SALU_CYCLE_1)
	s_cmp_eq_u32 s33, 32
	s_cbranch_scc1 .LBB0_85
.LBB0_55:                               ;   Parent Loop BB0_53 Depth=1
                                        ; =>  This Inner Loop Header: Depth=2
	v_add_nc_u32_e32 v125, s33, v34
	ds_load_b64 v[0:1], v125
	s_wait_dscnt 0x0
	ds_store_b64 v35, v[0:1]
	s_wait_dscnt 0x0
	s_barrier_signal -1
	s_barrier_wait -1
	s_wait_xcnt 0x0
	s_and_saveexec_b32 s34, s23
	s_cbranch_execz .LBB0_57
; %bb.56:                               ;   in Loop: Header=BB0_55 Depth=2
	v_add_nc_u32_e32 v26, v35, v33
	ds_load_b128 v[46:49], v26
	s_wait_dscnt 0x0
	v_add_nc_u64_e32 v[0:1], v[48:49], v[46:47]
	ds_store_b64 v26, v[0:1] offset:8
.LBB0_57:                               ;   in Loop: Header=BB0_55 Depth=2
	s_or_b32 exec_lo, exec_lo, s34
	s_wait_dscnt 0x0
	s_barrier_signal -1
	s_barrier_wait -1
	s_and_saveexec_b32 s34, s24
	s_cbranch_execz .LBB0_59
; %bb.58:                               ;   in Loop: Header=BB0_55 Depth=2
	ds_load_b64 v[0:1], v37 offset:16408
	ds_load_b64 v[26:27], v36 offset:16408
	s_wait_dscnt 0x0
	v_add_nc_u64_e32 v[0:1], v[26:27], v[0:1]
	ds_store_b64 v36, v[0:1] offset:16408
.LBB0_59:                               ;   in Loop: Header=BB0_55 Depth=2
	s_or_b32 exec_lo, exec_lo, s34
	s_wait_dscnt 0x0
	s_barrier_signal -1
	s_barrier_wait -1
	s_and_saveexec_b32 s34, s25
	s_cbranch_execz .LBB0_61
; %bb.60:                               ;   in Loop: Header=BB0_55 Depth=2
	ds_load_b64 v[0:1], v39 offset:16408
	ds_load_b64 v[26:27], v38 offset:16408
	s_wait_dscnt 0x0
	v_add_nc_u64_e32 v[0:1], v[26:27], v[0:1]
	ds_store_b64 v38, v[0:1] offset:16408
.LBB0_61:                               ;   in Loop: Header=BB0_55 Depth=2
	;; [unrolled: 13-line block ×5, first 2 shown]
	s_or_b32 exec_lo, exec_lo, s34
	s_wait_dscnt 0x0
	s_barrier_signal -1
	s_barrier_wait -1
	s_and_saveexec_b32 s34, s29
	s_cbranch_execz .LBB0_69
; %bb.68:                               ;   in Loop: Header=BB0_55 Depth=2
	v_add_nc_u32_e64 v0, 24, 0
	ds_load_2addr_stride64_b64 v[46:49], v0 offset0:33 offset1:34
	s_wait_dscnt 0x0
	v_add_nc_u64_e32 v[0:1], v[48:49], v[46:47]
	ds_store_b64 v51, v[0:1] offset:17432
.LBB0_69:                               ;   in Loop: Header=BB0_55 Depth=2
	s_or_b32 exec_lo, exec_lo, s34
	s_wait_dscnt 0x0
	s_barrier_signal -1
	s_barrier_wait -1
	s_barrier_signal -1
	s_barrier_wait -1
	s_and_saveexec_b32 s34, s29
	s_cbranch_execz .LBB0_71
; %bb.70:                               ;   in Loop: Header=BB0_55 Depth=2
	ds_load_b64 v[0:1], v51 offset:17432
	v_add_nc_u32_e64 v26, 24, 0
	s_wait_dscnt 0x0
	ds_store_b64 v51, v[0:1] offset:17440
	s_wait_dscnt 0x0
	ds_store_b64 v51, v[28:29] offset:17432
	s_wait_dscnt 0x0
	ds_load_2addr_stride64_b64 v[46:49], v26 offset0:33 offset1:34
	s_wait_dscnt 0x0
	v_add_nc_u64_e32 v[0:1], v[48:49], v[46:47]
	ds_store_2addr_stride64_b64 v26, v[48:49], v[0:1] offset0:33 offset1:34
.LBB0_71:                               ;   in Loop: Header=BB0_55 Depth=2
	s_or_b32 exec_lo, exec_lo, s34
	s_wait_dscnt 0x0
	s_barrier_signal -1
	s_barrier_wait -1
	s_and_saveexec_b32 s34, s28
	s_cbranch_execz .LBB0_73
; %bb.72:                               ;   in Loop: Header=BB0_55 Depth=2
	ds_load_b64 v[0:1], v45 offset:16408
	ds_load_b64 v[26:27], v44 offset:16408
	s_wait_dscnt 0x0
	v_add_nc_u64_e32 v[0:1], v[26:27], v[0:1]
	ds_store_b64 v45, v[26:27] offset:16408
	ds_store_b64 v44, v[0:1] offset:16408
.LBB0_73:                               ;   in Loop: Header=BB0_55 Depth=2
	s_or_b32 exec_lo, exec_lo, s34
	s_wait_dscnt 0x0
	s_barrier_signal -1
	s_barrier_wait -1
	s_and_saveexec_b32 s34, s27
	s_cbranch_execz .LBB0_75
; %bb.74:                               ;   in Loop: Header=BB0_55 Depth=2
	ds_load_b64 v[0:1], v43 offset:16408
	ds_load_b64 v[26:27], v42 offset:16408
	s_wait_dscnt 0x0
	v_add_nc_u64_e32 v[0:1], v[26:27], v[0:1]
	ds_store_b64 v43, v[26:27] offset:16408
	ds_store_b64 v42, v[0:1] offset:16408
.LBB0_75:                               ;   in Loop: Header=BB0_55 Depth=2
	;; [unrolled: 14-line block ×5, first 2 shown]
	s_or_b32 exec_lo, exec_lo, s34
	s_wait_dscnt 0x0
	s_barrier_signal -1
	s_barrier_wait -1
	s_and_saveexec_b32 s34, s23
	s_cbranch_execz .LBB0_83
; %bb.82:                               ;   in Loop: Header=BB0_55 Depth=2
	v_add_nc_u32_e32 v0, v35, v33
	ds_load_b128 v[46:49], v0
	s_wait_dscnt 0x0
	v_add_nc_u64_e32 v[88:89], v[48:49], v[46:47]
	v_dual_mov_b32 v86, v48 :: v_dual_mov_b32 v87, v49
	ds_store_b128 v0, v[86:89]
.LBB0_83:                               ;   in Loop: Header=BB0_55 Depth=2
	s_or_b32 exec_lo, exec_lo, s34
	s_wait_dscnt 0x0
	s_barrier_signal -1
	s_barrier_wait -1
	s_barrier_signal -1
	s_barrier_wait -1
	ds_load_b64 v[0:1], v51 offset:17440
	s_wait_dscnt 0x0
	s_barrier_signal -1
	s_barrier_wait -1
	ds_load_b64 v[26:27], v35
	s_wait_dscnt 0x0
	ds_store_b64 v125, v[26:27]
	s_and_saveexec_b32 s34, s29
	s_cbranch_execz .LBB0_54
; %bb.84:                               ;   in Loop: Header=BB0_55 Depth=2
	v_mov_b32_e32 v26, s33
	ds_store_b64 v26, v[0:1] offset:16384
	s_branch .LBB0_54
.LBB0_85:                               ;   in Loop: Header=BB0_53 Depth=1
	s_wait_dscnt 0x0
	s_barrier_signal -1
	s_barrier_wait -1
	s_and_saveexec_b32 s33, s26
	s_cbranch_execz .LBB0_87
; %bb.86:                               ;   in Loop: Header=BB0_53 Depth=1
	ds_load_b32 v0, v52 offset:4096
	s_wait_dscnt 0x0
	v_lshrrev_b32_e32 v1, 16, v0
	s_delay_alu instid0(VALU_DEP_1)
	v_add_nc_u16 v0, v1, v0
	ds_store_b16 v52, v0 offset:4098
.LBB0_87:                               ;   in Loop: Header=BB0_53 Depth=1
	s_or_b32 exec_lo, exec_lo, s33
	s_wait_dscnt 0x0
	s_barrier_signal -1
	s_barrier_wait -1
	s_and_saveexec_b32 s33, s27
	s_cbranch_execz .LBB0_89
; %bb.88:                               ;   in Loop: Header=BB0_53 Depth=1
	s_clause 0x1
	scratch_load_b32 v0, off, off
	scratch_load_b32 v26, off, off offset:4
	s_wait_loadcnt 0x1
	ds_load_u16 v0, v0 offset:16382
	s_wait_loadcnt 0x0
	ds_load_u16 v1, v26 offset:16382
	s_wait_dscnt 0x0
	v_add_nc_u16 v0, v1, v0
	ds_store_b16 v26, v0 offset:16382
.LBB0_89:                               ;   in Loop: Header=BB0_53 Depth=1
	s_or_b32 exec_lo, exec_lo, s33
	s_wait_dscnt 0x0
	s_barrier_signal -1
	s_barrier_wait -1
	s_and_saveexec_b32 s33, s28
	s_cbranch_execz .LBB0_91
; %bb.90:                               ;   in Loop: Header=BB0_53 Depth=1
	scratch_load_b32 v0, off, off offset:8  ; 4-byte Folded Reload
	s_wait_loadcnt 0x0
	ds_load_u16 v0, v0 offset:16382
	ds_load_u16 v1, v127 offset:16382
	s_wait_dscnt 0x0
	v_add_nc_u16 v0, v1, v0
	ds_store_b16 v127, v0 offset:16382
.LBB0_91:                               ;   in Loop: Header=BB0_53 Depth=1
	s_or_b32 exec_lo, exec_lo, s33
	s_wait_dscnt 0x0
	s_barrier_signal -1
	s_barrier_wait -1
	s_and_saveexec_b32 s33, s29
	s_cbranch_execz .LBB0_93
; %bb.92:                               ;   in Loop: Header=BB0_53 Depth=1
	ds_load_u16 v0, v51 offset:16398
	ds_load_u16 v1, v51 offset:16414
	s_wait_dscnt 0x0
	v_add_nc_u32_e32 v0, v1, v0
	ds_store_b16 v51, v0 offset:16414
.LBB0_93:                               ;   in Loop: Header=BB0_53 Depth=1
	s_or_b32 exec_lo, exec_lo, s33
	s_wait_dscnt 0x0
	s_barrier_signal -1
	s_barrier_wait -1
	s_barrier_signal -1
	s_barrier_wait -1
	s_and_saveexec_b32 s33, s29
	s_cbranch_execz .LBB0_95
; %bb.94:                               ;   in Loop: Header=BB0_53 Depth=1
	ds_load_u16 v0, v51 offset:16414
	s_wait_dscnt 0x0
	ds_store_b16 v51, v0 offset:17448
	s_wait_dscnt 0x0
	ds_store_b16 v51, v51 offset:16414
	s_wait_dscnt 0x0
	ds_load_u16 v0, v51 offset:16398
	ds_load_u16 v1, v51 offset:16414
	s_wait_dscnt 0x0
	v_add_nc_u32_e32 v0, v1, v0
	ds_store_b16 v51, v1 offset:16398
	ds_store_b16 v51, v0 offset:16414
.LBB0_95:                               ;   in Loop: Header=BB0_53 Depth=1
	s_or_b32 exec_lo, exec_lo, s33
	s_wait_dscnt 0x0
	s_barrier_signal -1
	s_barrier_wait -1
	s_and_saveexec_b32 s33, s28
	s_cbranch_execz .LBB0_97
; %bb.96:                               ;   in Loop: Header=BB0_53 Depth=1
	scratch_load_b32 v26, off, off offset:8 ; 4-byte Folded Reload
	s_wait_loadcnt 0x0
	ds_load_u16 v0, v26 offset:16382
	ds_load_u16 v1, v127 offset:16382
	s_wait_dscnt 0x0
	v_add_nc_u16 v0, v1, v0
	ds_store_b16 v26, v1 offset:16382
	ds_store_b16 v127, v0 offset:16382
.LBB0_97:                               ;   in Loop: Header=BB0_53 Depth=1
	s_or_b32 exec_lo, exec_lo, s33
	s_wait_dscnt 0x0
	s_barrier_signal -1
	s_barrier_wait -1
	s_and_saveexec_b32 s33, s27
	s_cbranch_execz .LBB0_99
; %bb.98:                               ;   in Loop: Header=BB0_53 Depth=1
	s_clause 0x1
	scratch_load_b32 v26, off, off
	scratch_load_b32 v27, off, off offset:4
	s_wait_loadcnt 0x1
	ds_load_u16 v0, v26 offset:16382
	s_wait_loadcnt 0x0
	ds_load_u16 v1, v27 offset:16382
	s_wait_dscnt 0x0
	v_add_nc_u16 v0, v1, v0
	ds_store_b16 v26, v1 offset:16382
	ds_store_b16 v27, v0 offset:16382
.LBB0_99:                               ;   in Loop: Header=BB0_53 Depth=1
	s_or_b32 exec_lo, exec_lo, s33
	s_wait_dscnt 0x0
	s_barrier_signal -1
	s_barrier_wait -1
	s_and_saveexec_b32 s33, s26
	s_cbranch_execz .LBB0_101
; %bb.100:                              ;   in Loop: Header=BB0_53 Depth=1
	ds_load_b32 v0, v52 offset:4096
	s_wait_dscnt 0x0
	v_lshrrev_b32_e32 v1, 16, v0
	s_delay_alu instid0(VALU_DEP_1) | instskip(NEXT) | instid1(VALU_DEP_1)
	v_add_nc_u16 v1, v1, v0
	v_alignbit_b32 v0, v1, v0, 16
	ds_store_b32 v52, v0 offset:4096
.LBB0_101:                              ;   in Loop: Header=BB0_53 Depth=1
	s_or_b32 exec_lo, exec_lo, s33
	s_wait_dscnt 0x0
	s_barrier_signal -1
	s_barrier_wait -1
	s_barrier_signal -1
	s_barrier_wait -1
	;; [unrolled: 2-line block ×3, first 2 shown]
	ds_load_u16 v0, v119
	v_lshl_or_b32 v1, v122, 3, v124
	s_add_co_i32 s33, s37, 4
	s_mov_b32 s34, 0
	s_delay_alu instid0(SALU_CYCLE_1)
	s_mov_b32 s35, s34
	ds_load_u16 v1, v1 offset:16384
	s_mov_b32 s40, s34
	s_mov_b32 s41, s34
	s_wait_dscnt 0x1
	v_and_b32_e32 v26, 0xffff, v0
	v_add_nc_u16 v0, v0, 1
	s_delay_alu instid0(VALU_DEP_2)
	v_lshlrev_b32_e32 v26, 2, v26
	ds_store_b16 v119, v0
	ds_load_u16 v0, v116
	s_wait_dscnt 0x2
	v_lshl_add_u32 v1, v1, 2, v26
	v_lshl_or_b32 v26, v120, 3, v123
	ds_load_u16 v26, v26 offset:16384
	s_wait_dscnt 0x1
	v_and_b32_e32 v27, 0xffff, v0
	v_add_nc_u16 v0, v0, 1
	ds_store_b32 v1, v22
	v_lshl_or_b32 v22, v117, 3, v121
	v_lshlrev_b32_e32 v27, 2, v27
	ds_store_b16 v116, v0
	ds_load_u16 v0, v113
	ds_load_u16 v22, v22 offset:16384
	s_wait_dscnt 0x4
	v_lshl_add_u32 v1, v26, 2, v27
	s_wait_dscnt 0x1
	v_and_b32_e32 v26, 0xffff, v0
	v_add_nc_u16 v0, v0, 1
	ds_store_b32 v1, v23
	v_lshlrev_b32_e32 v26, 2, v26
	ds_store_b16 v113, v0
	ds_load_u16 v0, v110
	s_wait_dscnt 0x3
	v_lshl_add_u32 v1, v22, 2, v26
	v_lshl_or_b32 v22, v114, 3, v118
	ds_load_u16 v22, v22 offset:16384
	s_wait_dscnt 0x1
	v_and_b32_e32 v23, 0xffff, v0
	v_add_nc_u16 v0, v0, 1
	ds_store_b32 v1, v24
	v_lshlrev_b32_e32 v23, 2, v23
	ds_store_b16 v110, v0
	ds_load_u16 v0, v107
	s_wait_dscnt 0x3
	v_lshl_add_u32 v1, v22, 2, v23
	v_lshl_or_b32 v22, v111, 3, v115
	ds_load_u16 v22, v22 offset:16384
	s_wait_dscnt 0x1
	v_and_b32_e32 v23, 0xffff, v0
	v_add_nc_u16 v0, v0, 1
	ds_store_b32 v1, v25
	v_lshlrev_b32_e32 v23, 2, v23
	ds_store_b16 v107, v0
	ds_load_u16 v0, v104
	s_wait_dscnt 0x3
	v_lshl_add_u32 v1, v22, 2, v23
	v_lshl_or_b32 v22, v108, 3, v112
	ds_load_u16 v22, v22 offset:16384
	s_wait_dscnt 0x1
	v_and_b32_e32 v23, 0xffff, v0
	v_add_nc_u16 v0, v0, 1
	ds_store_b32 v1, v18
	v_lshl_or_b32 v18, v105, 3, v109
	v_lshlrev_b32_e32 v23, 2, v23
	ds_store_b16 v104, v0
	ds_load_u16 v0, v101
	ds_load_u16 v18, v18 offset:16384
	s_wait_dscnt 0x4
	v_lshl_add_u32 v1, v22, 2, v23
	s_wait_dscnt 0x1
	v_and_b32_e32 v22, 0xffff, v0
	v_add_nc_u16 v0, v0, 1
	ds_store_b32 v1, v19
	v_lshlrev_b32_e32 v22, 2, v22
	ds_store_b16 v101, v0
	ds_load_u16 v0, v98
	s_wait_dscnt 0x3
	v_lshl_add_u32 v1, v18, 2, v22
	v_lshl_or_b32 v18, v102, 3, v106
	ds_load_u16 v18, v18 offset:16384
	s_wait_dscnt 0x1
	v_and_b32_e32 v19, 0xffff, v0
	v_add_nc_u16 v0, v0, 1
	ds_store_b32 v1, v20
	v_lshlrev_b32_e32 v19, 2, v19
	ds_store_b16 v98, v0
	ds_load_u16 v0, v92
	s_wait_dscnt 0x3
	v_lshl_add_u32 v1, v18, 2, v19
	v_lshl_or_b32 v18, v99, 3, v103
	ds_load_u16 v18, v18 offset:16384
	s_wait_dscnt 0x1
	v_and_b32_e32 v19, 0xffff, v0
	v_add_nc_u16 v0, v0, 1
	ds_store_b32 v1, v21
	;; [unrolled: 44-line block ×4, first 2 shown]
	v_lshlrev_b32_e32 v11, 2, v11
	ds_store_b16 v64, v0
	ds_load_u16 v0, v61
	s_wait_dscnt 0x3
	v_lshl_add_u32 v1, v10, 2, v11
	v_lshl_or_b32 v10, v74, 3, v81
	ds_load_u16 v10, v10 offset:16384
	s_wait_dscnt 0x1
	v_and_b32_e32 v11, 0xffff, v0
	v_add_nc_u16 v0, v0, 1
	ds_store_b32 v1, v6
	v_lshl_or_b32 v6, v71, 3, v78
	v_lshlrev_b32_e32 v11, 2, v11
	ds_store_b16 v61, v0
	ds_load_u16 v0, v59
	ds_load_u16 v6, v6 offset:16384
	s_wait_dscnt 0x4
	v_lshl_add_u32 v1, v10, 2, v11
	s_wait_dscnt 0x1
	v_and_b32_e32 v10, 0xffff, v0
	v_add_nc_u16 v0, v0, 1
	ds_store_b32 v1, v7
	v_lshlrev_b32_e32 v10, 2, v10
	ds_store_b16 v59, v0
	ds_load_u16 v0, v57
	s_wait_dscnt 0x3
	v_lshl_add_u32 v1, v6, 2, v10
	v_lshl_or_b32 v6, v68, 3, v75
	v_mov_b64_e32 v[10:11], s[40:41]
	ds_load_u16 v6, v6 offset:16384
	s_wait_dscnt 0x1
	v_and_b32_e32 v7, 0xffff, v0
	v_add_nc_u16 v0, v0, 1
	ds_store_b32 v1, v8
	v_lshlrev_b32_e32 v7, 2, v7
	ds_store_b16 v57, v0
	ds_load_u16 v0, v56
	s_wait_dscnt 0x3
	v_lshl_add_u32 v1, v6, 2, v7
	v_lshl_or_b32 v6, v65, 3, v72
	ds_load_u16 v6, v6 offset:16384
	s_wait_dscnt 0x1
	v_and_b32_e32 v7, 0xffff, v0
	v_add_nc_u16 v0, v0, 1
	ds_store_b32 v1, v9
	v_lshlrev_b32_e32 v7, 2, v7
	ds_store_b16 v56, v0
	ds_load_u16 v0, v55
	s_wait_dscnt 0x3
	v_lshl_add_u32 v1, v6, 2, v7
	v_lshl_or_b32 v6, v62, 3, v69
	ds_load_u16 v6, v6 offset:16384
	s_wait_dscnt 0x1
	v_and_b32_e32 v7, 0xffff, v0
	v_add_nc_u16 v0, v0, 1
	ds_store_b32 v1, v2
	v_lshl_or_b32 v2, v60, 3, v66
	v_lshlrev_b32_e32 v7, 2, v7
	ds_store_b16 v55, v0
	ds_load_u16 v0, v54
	ds_load_u16 v2, v2 offset:16384
	s_wait_dscnt 0x4
	v_lshl_add_u32 v1, v6, 2, v7
	s_wait_dscnt 0x1
	v_and_b32_e32 v6, 0xffff, v0
	v_add_nc_u16 v0, v0, 1
	ds_store_b32 v1, v3
	v_lshlrev_b32_e32 v6, 2, v6
	ds_store_b16 v54, v0
	ds_load_u16 v0, v53
	s_wait_dscnt 0x3
	v_lshl_add_u32 v1, v2, 2, v6
	v_lshl_or_b32 v2, v58, 3, v63
	ds_load_u16 v2, v2 offset:16384
	s_wait_dscnt 0x1
	v_and_b32_e32 v3, 0xffff, v0
	v_add_nc_u16 v0, v0, 1
	s_delay_alu instid0(VALU_DEP_2) | instskip(SKIP_1) | instid1(VALU_DEP_1)
	v_lshlrev_b32_e32 v3, 2, v3
	s_wait_dscnt 0x0
	v_lshl_add_u32 v2, v2, 2, v3
	ds_store_b32 v1, v4
	ds_store_b16 v53, v0
	ds_store_b32 v2, v5
	s_wait_dscnt 0x0
	s_barrier_signal -1
	s_barrier_wait -1
	ds_load_b128 v[4:7], v50
	ds_load_b128 v[0:3], v50 offset:16
	s_wait_dscnt 0x1
	v_ashrrev_i32_e32 v8, s33, v4
	s_delay_alu instid0(VALU_DEP_1) | instskip(NEXT) | instid1(VALU_DEP_1)
	v_dual_lshrrev_b32 v9, 2, v8 :: v_dual_bitop2_b32 v8, 3, v8 bitop3:0x40
	v_dual_lshlrev_b32 v58, 1, v8 :: v_dual_bitop2_b32 v53, 3, v9 bitop3:0x40
	v_mov_b64_e32 v[8:9], s[34:35]
	ds_store_2addr_b64 v34, v[8:9], v[10:11] offset1:1
	ds_store_2addr_b64 v34, v[8:9], v[10:11] offset0:2 offset1:3
	v_lshlrev_b32_e32 v12, 3, v53
	v_ashrrev_i32_e32 v9, s33, v5
	s_delay_alu instid0(VALU_DEP_2) | instskip(NEXT) | instid1(VALU_DEP_2)
	v_add3_u32 v54, v34, v12, v58
	v_dual_lshrrev_b32 v10, 2, v9 :: v_dual_bitop2_b32 v9, 3, v9 bitop3:0x40
	ds_load_b128 v[12:15], v50 offset:32
	ds_load_u16 v8, v54
	v_dual_lshlrev_b32 v60, 1, v9 :: v_dual_bitop2_b32 v59, 3, v10 bitop3:0x40
	s_delay_alu instid0(VALU_DEP_1) | instskip(NEXT) | instid1(VALU_DEP_1)
	v_lshlrev_b32_e32 v9, 3, v59
	v_add3_u32 v55, v34, v9, v60
	v_ashrrev_i32_e32 v9, s33, v6
	s_delay_alu instid0(VALU_DEP_1) | instskip(SKIP_2) | instid1(VALU_DEP_2)
	v_dual_lshrrev_b32 v10, 2, v9 :: v_dual_bitop2_b32 v9, 3, v9 bitop3:0x40
	s_wait_dscnt 0x0
	v_add_nc_u16 v8, v8, 1
	v_dual_lshlrev_b32 v66, 1, v9 :: v_dual_bitop2_b32 v62, 3, v10 bitop3:0x40
	ds_store_b16 v54, v8
	ds_load_u16 v8, v55
	v_lshlrev_b32_e32 v9, 3, v62
	s_delay_alu instid0(VALU_DEP_1) | instskip(SKIP_1) | instid1(VALU_DEP_1)
	v_add3_u32 v57, v34, v9, v66
	v_ashrrev_i32_e32 v9, s33, v7
	v_lshrrev_b32_e32 v10, 2, v9
	s_delay_alu instid0(VALU_DEP_1) | instskip(SKIP_3) | instid1(VALU_DEP_2)
	v_and_b32_e32 v61, 3, v10
	v_and_b32_e32 v9, 3, v9
	s_wait_dscnt 0x0
	v_add_nc_u16 v8, v8, 1
	v_lshlrev_b32_e32 v64, 1, v9
	v_lshlrev_b32_e32 v9, 3, v61
	ds_store_b16 v55, v8
	ds_load_u16 v8, v57
	v_add3_u32 v56, v34, v9, v64
	v_ashrrev_i32_e32 v9, s33, v0
	s_delay_alu instid0(VALU_DEP_1) | instskip(NEXT) | instid1(VALU_DEP_1)
	v_dual_lshrrev_b32 v10, 2, v9 :: v_dual_bitop2_b32 v9, 3, v9 bitop3:0x40
	v_dual_lshlrev_b32 v71, 1, v9 :: v_dual_bitop2_b32 v69, 3, v10 bitop3:0x40
	s_delay_alu instid0(VALU_DEP_1) | instskip(SKIP_2) | instid1(VALU_DEP_2)
	v_lshlrev_b32_e32 v9, 3, v69
	s_wait_dscnt 0x0
	v_add_nc_u16 v8, v8, 1
	v_add3_u32 v65, v34, v9, v71
	ds_store_b16 v57, v8
	ds_load_u16 v8, v56
	v_ashrrev_i32_e32 v9, s33, v1
	s_delay_alu instid0(VALU_DEP_1) | instskip(NEXT) | instid1(VALU_DEP_1)
	v_dual_lshrrev_b32 v10, 2, v9 :: v_dual_bitop2_b32 v9, 3, v9 bitop3:0x40
	v_dual_lshlrev_b32 v70, 1, v9 :: v_dual_bitop2_b32 v68, 3, v10 bitop3:0x40
	s_delay_alu instid0(VALU_DEP_1) | instskip(SKIP_2) | instid1(VALU_DEP_2)
	v_lshlrev_b32_e32 v9, 3, v68
	s_wait_dscnt 0x0
	v_add_nc_u16 v8, v8, 1
	v_add3_u32 v63, v34, v9, v70
	v_ashrrev_i32_e32 v9, s33, v2
	ds_store_b16 v56, v8
	ds_load_u16 v8, v65
	v_dual_lshrrev_b32 v10, 2, v9 :: v_dual_bitop2_b32 v9, 3, v9 bitop3:0x40
	s_delay_alu instid0(VALU_DEP_1) | instskip(NEXT) | instid1(VALU_DEP_1)
	v_dual_lshlrev_b32 v74, 1, v9 :: v_dual_bitop2_b32 v72, 3, v10 bitop3:0x40
	v_lshlrev_b32_e32 v9, 3, v72
	s_delay_alu instid0(VALU_DEP_1) | instskip(SKIP_3) | instid1(VALU_DEP_2)
	v_add3_u32 v67, v34, v9, v74
	v_ashrrev_i32_e32 v9, s33, v3
	s_wait_dscnt 0x0
	v_add_nc_u16 v8, v8, 1
	v_lshrrev_b32_e32 v10, 2, v9
	ds_store_b16 v65, v8
	ds_load_u16 v8, v63
	v_and_b32_e32 v75, 3, v10
	v_and_b32_e32 v9, 3, v9
	s_delay_alu instid0(VALU_DEP_1) | instskip(NEXT) | instid1(VALU_DEP_1)
	v_dual_lshlrev_b32 v76, 1, v9 :: v_dual_lshlrev_b32 v9, 3, v75
	v_add3_u32 v73, v34, v9, v76
	s_wait_dscnt 0x0
	v_add_nc_u16 v8, v8, 1
	ds_store_b16 v63, v8
	ds_load_u16 v8, v67
	s_wait_dscnt 0x0
	v_add_nc_u16 v16, v8, 1
	ds_load_b128 v[8:11], v50 offset:48
	v_ashrrev_i32_e32 v17, s33, v12
	ds_store_b16 v67, v16
	ds_load_u16 v16, v73
	v_dual_lshrrev_b32 v18, 2, v17 :: v_dual_bitop2_b32 v17, 3, v17 bitop3:0x40
	s_delay_alu instid0(VALU_DEP_1) | instskip(SKIP_1) | instid1(VALU_DEP_1)
	v_dual_lshlrev_b32 v98, 1, v17 :: v_dual_bitop2_b32 v97, 3, v18 bitop3:0x40
	s_wait_dscnt 0x2
	v_dual_lshlrev_b32 v17, 3, v97 :: v_dual_ashrrev_i32 v21, s33, v11
	s_delay_alu instid0(VALU_DEP_1) | instskip(SKIP_4) | instid1(VALU_DEP_3)
	v_add3_u32 v92, v34, v17, v98
	v_ashrrev_i32_e32 v17, s33, v13
	s_wait_dscnt 0x0
	v_add_nc_u16 v16, v16, 1
	v_lshrrev_b32_e32 v22, 2, v21
	v_dual_lshrrev_b32 v18, 2, v17 :: v_dual_bitop2_b32 v17, 3, v17 bitop3:0x40
	ds_store_b16 v73, v16
	ds_load_u16 v16, v92
	v_dual_lshlrev_b32 v96, 1, v17 :: v_dual_bitop2_b32 v94, 3, v18 bitop3:0x40
	v_and_b32_e32 v99, 3, v22
	s_delay_alu instid0(VALU_DEP_2) | instskip(NEXT) | instid1(VALU_DEP_1)
	v_dual_lshlrev_b32 v17, 3, v94 :: v_dual_bitop2_b32 v21, 3, v21 bitop3:0x40
	v_dual_lshlrev_b32 v100, 1, v21 :: v_dual_lshlrev_b32 v21, 3, v99
	s_delay_alu instid0(VALU_DEP_2) | instskip(SKIP_1) | instid1(VALU_DEP_3)
	v_add3_u32 v84, v34, v17, v96
	v_ashrrev_i32_e32 v17, s33, v14
	v_add3_u32 v93, v34, v21, v100
	s_delay_alu instid0(VALU_DEP_2) | instskip(SKIP_2) | instid1(VALU_DEP_2)
	v_dual_lshrrev_b32 v18, 2, v17 :: v_dual_bitop2_b32 v17, 3, v17 bitop3:0x40
	s_wait_dscnt 0x0
	v_add_nc_u16 v16, v16, 1
	v_dual_lshlrev_b32 v88, 1, v17 :: v_dual_bitop2_b32 v86, 3, v18 bitop3:0x40
	ds_store_b16 v92, v16
	ds_load_u16 v16, v84
	v_lshlrev_b32_e32 v17, 3, v86
	s_delay_alu instid0(VALU_DEP_1) | instskip(SKIP_1) | instid1(VALU_DEP_1)
	v_add3_u32 v78, v34, v17, v88
	v_ashrrev_i32_e32 v17, s33, v15
	v_lshrrev_b32_e32 v18, 2, v17
	s_delay_alu instid0(VALU_DEP_1) | instskip(SKIP_3) | instid1(VALU_DEP_2)
	v_and_b32_e32 v81, 3, v18
	v_and_b32_e32 v17, 3, v17
	s_wait_dscnt 0x0
	v_add_nc_u16 v16, v16, 1
	v_lshlrev_b32_e32 v82, 1, v17
	v_lshlrev_b32_e32 v17, 3, v81
	ds_store_b16 v84, v16
	ds_load_u16 v16, v78
	v_add3_u32 v77, v34, v17, v82
	v_ashrrev_i32_e32 v17, s33, v8
	s_delay_alu instid0(VALU_DEP_1) | instskip(NEXT) | instid1(VALU_DEP_1)
	v_dual_lshrrev_b32 v18, 2, v17 :: v_dual_bitop2_b32 v17, 3, v17 bitop3:0x40
	v_dual_lshlrev_b32 v90, 1, v17 :: v_dual_bitop2_b32 v87, 3, v18 bitop3:0x40
	s_delay_alu instid0(VALU_DEP_1) | instskip(SKIP_2) | instid1(VALU_DEP_2)
	v_lshlrev_b32_e32 v17, 3, v87
	s_wait_dscnt 0x0
	v_add_nc_u16 v16, v16, 1
	v_add3_u32 v80, v34, v17, v90
	ds_store_b16 v78, v16
	ds_load_u16 v16, v77
	v_ashrrev_i32_e32 v17, s33, v9
	s_delay_alu instid0(VALU_DEP_1) | instskip(NEXT) | instid1(VALU_DEP_1)
	v_lshrrev_b32_e32 v18, 2, v17
	v_and_b32_e32 v85, 3, v18
	v_and_b32_e32 v17, 3, v17
	s_delay_alu instid0(VALU_DEP_1) | instskip(NEXT) | instid1(VALU_DEP_3)
	v_lshlrev_b32_e32 v89, 1, v17
	v_lshlrev_b32_e32 v17, 3, v85
	s_wait_dscnt 0x0
	v_add_nc_u16 v16, v16, 1
	s_delay_alu instid0(VALU_DEP_2) | instskip(SKIP_4) | instid1(VALU_DEP_1)
	v_add3_u32 v79, v34, v17, v89
	v_ashrrev_i32_e32 v17, s33, v10
	ds_store_b16 v77, v16
	ds_load_u16 v16, v80
	v_dual_lshrrev_b32 v18, 2, v17 :: v_dual_bitop2_b32 v17, 3, v17 bitop3:0x40
	v_dual_lshlrev_b32 v95, 1, v17 :: v_dual_bitop2_b32 v91, 3, v18 bitop3:0x40
	s_delay_alu instid0(VALU_DEP_1) | instskip(NEXT) | instid1(VALU_DEP_1)
	v_lshlrev_b32_e32 v17, 3, v91
	v_add3_u32 v83, v34, v17, v95
	s_wait_dscnt 0x0
	v_add_nc_u16 v16, v16, 1
	ds_store_b16 v80, v16
	ds_load_u16 v16, v79
	s_wait_dscnt 0x0
	v_add_nc_u16 v16, v16, 1
	ds_store_b16 v79, v16
	ds_load_u16 v20, v83
	ds_load_b128 v[16:19], v50 offset:64
	s_wait_dscnt 0x1
	v_add_nc_u16 v24, v20, 1
	ds_load_b128 v[20:23], v50 offset:80
	s_wait_dscnt 0x1
	v_ashrrev_i32_e32 v25, s33, v16
	ds_store_b16 v83, v24
	ds_load_u16 v24, v93
	v_lshrrev_b32_e32 v26, 2, v25
	s_delay_alu instid0(VALU_DEP_1) | instskip(SKIP_1) | instid1(VALU_DEP_1)
	v_and_b32_e32 v123, 3, v26
	v_and_b32_e32 v25, 3, v25
	v_dual_lshlrev_b32 v124, 1, v25 :: v_dual_lshlrev_b32 v25, 3, v123
	s_delay_alu instid0(VALU_DEP_1) | instskip(SKIP_3) | instid1(VALU_DEP_2)
	v_add3_u32 v118, v34, v25, v124
	v_ashrrev_i32_e32 v25, s33, v17
	s_wait_dscnt 0x0
	v_add_nc_u16 v24, v24, 1
	v_lshrrev_b32_e32 v26, 2, v25
	ds_store_b16 v93, v24
	ds_load_u16 v24, v118
	v_and_b32_e32 v120, 3, v26
	v_and_b32_e32 v25, 3, v25
	s_delay_alu instid0(VALU_DEP_1) | instskip(NEXT) | instid1(VALU_DEP_1)
	v_dual_lshlrev_b32 v122, 1, v25 :: v_dual_lshlrev_b32 v25, 3, v120
	v_add3_u32 v109, v34, v25, v122
	v_ashrrev_i32_e32 v25, s33, v18
	s_wait_dscnt 0x0
	v_add_nc_u16 v24, v24, 1
	s_delay_alu instid0(VALU_DEP_2) | instskip(SKIP_3) | instid1(VALU_DEP_1)
	v_dual_lshrrev_b32 v26, 2, v25 :: v_dual_bitop2_b32 v25, 3, v25 bitop3:0x40
	ds_store_b16 v118, v24
	ds_load_u16 v24, v109
	v_dual_lshlrev_b32 v113, 1, v25 :: v_dual_bitop2_b32 v111, 3, v26 bitop3:0x40
	v_lshlrev_b32_e32 v25, 3, v111
	s_delay_alu instid0(VALU_DEP_1) | instskip(SKIP_1) | instid1(VALU_DEP_1)
	v_add3_u32 v102, v34, v25, v113
	v_ashrrev_i32_e32 v25, s33, v19
	v_dual_lshrrev_b32 v26, 2, v25 :: v_dual_bitop2_b32 v25, 3, v25 bitop3:0x40
	s_wait_dscnt 0x0
	v_add_nc_u16 v24, v24, 1
	s_delay_alu instid0(VALU_DEP_2) | instskip(SKIP_3) | instid1(VALU_DEP_1)
	v_dual_lshlrev_b32 v107, 1, v25 :: v_dual_bitop2_b32 v105, 3, v26 bitop3:0x40
	ds_store_b16 v109, v24
	ds_load_u16 v24, v102
	v_lshlrev_b32_e32 v25, 3, v105
	v_add3_u32 v101, v34, v25, v107
	v_ashrrev_i32_e32 v25, s33, v20
	s_delay_alu instid0(VALU_DEP_1) | instskip(NEXT) | instid1(VALU_DEP_1)
	v_dual_lshrrev_b32 v26, 2, v25 :: v_dual_bitop2_b32 v25, 3, v25 bitop3:0x40
	v_dual_lshlrev_b32 v116, 1, v25 :: v_dual_bitop2_b32 v112, 3, v26 bitop3:0x40
	s_wait_dscnt 0x0
	v_add_nc_u16 v24, v24, 1
	s_delay_alu instid0(VALU_DEP_2) | instskip(SKIP_4) | instid1(VALU_DEP_1)
	v_lshlrev_b32_e32 v25, 3, v112
	ds_store_b16 v102, v24
	ds_load_u16 v24, v101
	v_add3_u32 v104, v34, v25, v116
	v_ashrrev_i32_e32 v25, s33, v21
	v_dual_lshrrev_b32 v26, 2, v25 :: v_dual_bitop2_b32 v25, 3, v25 bitop3:0x40
	s_delay_alu instid0(VALU_DEP_1) | instskip(NEXT) | instid1(VALU_DEP_1)
	v_dual_lshlrev_b32 v114, 1, v25 :: v_dual_bitop2_b32 v110, 3, v26 bitop3:0x40
	v_lshlrev_b32_e32 v25, 3, v110
	s_wait_dscnt 0x0
	v_add_nc_u16 v24, v24, 1
	s_delay_alu instid0(VALU_DEP_2) | instskip(SKIP_4) | instid1(VALU_DEP_1)
	v_add3_u32 v103, v34, v25, v114
	v_ashrrev_i32_e32 v25, s33, v22
	ds_store_b16 v101, v24
	ds_load_u16 v24, v104
	v_dual_lshrrev_b32 v26, 2, v25 :: v_dual_bitop2_b32 v25, 3, v25 bitop3:0x40
	v_dual_lshlrev_b32 v121, 1, v25 :: v_dual_bitop2_b32 v117, 3, v26 bitop3:0x40
	s_delay_alu instid0(VALU_DEP_1) | instskip(NEXT) | instid1(VALU_DEP_1)
	v_lshlrev_b32_e32 v25, 3, v117
	v_add3_u32 v108, v34, v25, v121
	v_ashrrev_i32_e32 v25, s33, v23
	s_wait_dscnt 0x0
	v_add_nc_u16 v24, v24, 1
	s_delay_alu instid0(VALU_DEP_2) | instskip(SKIP_3) | instid1(VALU_DEP_1)
	v_dual_lshrrev_b32 v26, 2, v25 :: v_dual_bitop2_b32 v25, 3, v25 bitop3:0x40
	ds_store_b16 v104, v24
	ds_load_u16 v24, v103
	v_dual_lshlrev_b32 v119, 1, v25 :: v_dual_bitop2_b32 v115, 3, v26 bitop3:0x40
	v_lshlrev_b32_e32 v25, 3, v115
	s_delay_alu instid0(VALU_DEP_1)
	v_add3_u32 v106, v34, v25, v119
	s_wait_dscnt 0x0
	v_add_nc_u16 v24, v24, 1
	ds_store_b16 v103, v24
	ds_load_u16 v24, v108
	s_wait_dscnt 0x0
	v_add_nc_u16 v24, v24, 1
	ds_store_b16 v108, v24
	ds_load_u16 v24, v106
	s_wait_dscnt 0x0
	v_add_nc_u16 v24, v24, 1
	ds_store_b16 v106, v24
	s_wait_dscnt 0x0
	s_barrier_signal -1
	s_barrier_wait -1
	s_branch .LBB0_103
.LBB0_102:                              ;   in Loop: Header=BB0_103 Depth=2
	s_or_b32 exec_lo, exec_lo, s33
	s_add_co_i32 s34, s34, 8
	s_delay_alu instid0(SALU_CYCLE_1)
	s_cmp_eq_u32 s34, 32
	s_cbranch_scc1 .LBB0_133
.LBB0_103:                              ;   Parent Loop BB0_53 Depth=1
                                        ; =>  This Inner Loop Header: Depth=2
	v_add_nc_u32_e32 v125, s34, v34
	ds_load_b64 v[24:25], v125
	s_wait_dscnt 0x0
	ds_store_b64 v35, v[24:25]
	s_wait_dscnt 0x0
	s_barrier_signal -1
	s_barrier_wait -1
	s_and_saveexec_b32 s33, s23
	s_cbranch_execz .LBB0_105
; %bb.104:                              ;   in Loop: Header=BB0_103 Depth=2
	v_add_nc_u32_e32 v26, v35, v33
	ds_load_b128 v[46:49], v26
	s_wait_dscnt 0x0
	v_add_nc_u64_e32 v[24:25], v[48:49], v[46:47]
	ds_store_b64 v26, v[24:25] offset:8
.LBB0_105:                              ;   in Loop: Header=BB0_103 Depth=2
	s_or_b32 exec_lo, exec_lo, s33
	s_wait_dscnt 0x0
	s_barrier_signal -1
	s_barrier_wait -1
	s_and_saveexec_b32 s33, s24
	s_cbranch_execz .LBB0_107
; %bb.106:                              ;   in Loop: Header=BB0_103 Depth=2
	ds_load_b64 v[24:25], v37 offset:16408
	ds_load_b64 v[26:27], v36 offset:16408
	s_wait_dscnt 0x0
	v_add_nc_u64_e32 v[24:25], v[26:27], v[24:25]
	ds_store_b64 v36, v[24:25] offset:16408
.LBB0_107:                              ;   in Loop: Header=BB0_103 Depth=2
	s_or_b32 exec_lo, exec_lo, s33
	s_wait_dscnt 0x0
	s_barrier_signal -1
	s_barrier_wait -1
	s_and_saveexec_b32 s33, s25
	s_cbranch_execz .LBB0_109
; %bb.108:                              ;   in Loop: Header=BB0_103 Depth=2
	ds_load_b64 v[24:25], v39 offset:16408
	ds_load_b64 v[26:27], v38 offset:16408
	s_wait_dscnt 0x0
	v_add_nc_u64_e32 v[24:25], v[26:27], v[24:25]
	ds_store_b64 v38, v[24:25] offset:16408
.LBB0_109:                              ;   in Loop: Header=BB0_103 Depth=2
	;; [unrolled: 13-line block ×5, first 2 shown]
	s_or_b32 exec_lo, exec_lo, s33
	s_wait_dscnt 0x0
	s_barrier_signal -1
	s_barrier_wait -1
	s_and_saveexec_b32 s33, s29
	s_cbranch_execz .LBB0_117
; %bb.116:                              ;   in Loop: Header=BB0_103 Depth=2
	v_add_nc_u32_e64 v24, 24, 0
	ds_load_2addr_stride64_b64 v[46:49], v24 offset0:33 offset1:34
	s_wait_dscnt 0x0
	v_add_nc_u64_e32 v[24:25], v[48:49], v[46:47]
	ds_store_b64 v51, v[24:25] offset:17432
.LBB0_117:                              ;   in Loop: Header=BB0_103 Depth=2
	s_or_b32 exec_lo, exec_lo, s33
	s_wait_dscnt 0x0
	s_barrier_signal -1
	s_barrier_wait -1
	s_barrier_signal -1
	s_barrier_wait -1
	s_and_saveexec_b32 s33, s29
	s_cbranch_execz .LBB0_119
; %bb.118:                              ;   in Loop: Header=BB0_103 Depth=2
	ds_load_b64 v[24:25], v51 offset:17432
	v_add_nc_u32_e64 v26, 24, 0
	s_wait_dscnt 0x0
	ds_store_b64 v51, v[24:25] offset:17440
	s_wait_dscnt 0x0
	ds_store_b64 v51, v[28:29] offset:17432
	s_wait_dscnt 0x0
	ds_load_2addr_stride64_b64 v[46:49], v26 offset0:33 offset1:34
	s_wait_dscnt 0x0
	v_add_nc_u64_e32 v[24:25], v[48:49], v[46:47]
	ds_store_2addr_stride64_b64 v26, v[48:49], v[24:25] offset0:33 offset1:34
.LBB0_119:                              ;   in Loop: Header=BB0_103 Depth=2
	s_or_b32 exec_lo, exec_lo, s33
	s_wait_dscnt 0x0
	s_barrier_signal -1
	s_barrier_wait -1
	s_and_saveexec_b32 s33, s28
	s_cbranch_execz .LBB0_121
; %bb.120:                              ;   in Loop: Header=BB0_103 Depth=2
	ds_load_b64 v[24:25], v45 offset:16408
	ds_load_b64 v[26:27], v44 offset:16408
	s_wait_dscnt 0x0
	v_add_nc_u64_e32 v[24:25], v[26:27], v[24:25]
	ds_store_b64 v45, v[26:27] offset:16408
	ds_store_b64 v44, v[24:25] offset:16408
.LBB0_121:                              ;   in Loop: Header=BB0_103 Depth=2
	s_or_b32 exec_lo, exec_lo, s33
	s_wait_dscnt 0x0
	s_barrier_signal -1
	s_barrier_wait -1
	s_and_saveexec_b32 s33, s27
	s_cbranch_execz .LBB0_123
; %bb.122:                              ;   in Loop: Header=BB0_103 Depth=2
	ds_load_b64 v[24:25], v43 offset:16408
	ds_load_b64 v[26:27], v42 offset:16408
	s_wait_dscnt 0x0
	v_add_nc_u64_e32 v[24:25], v[26:27], v[24:25]
	ds_store_b64 v43, v[26:27] offset:16408
	ds_store_b64 v42, v[24:25] offset:16408
.LBB0_123:                              ;   in Loop: Header=BB0_103 Depth=2
	;; [unrolled: 14-line block ×5, first 2 shown]
	s_or_b32 exec_lo, exec_lo, s33
	s_wait_dscnt 0x0
	s_barrier_signal -1
	s_barrier_wait -1
	s_and_saveexec_b32 s33, s23
	s_cbranch_execz .LBB0_131
; %bb.130:                              ;   in Loop: Header=BB0_103 Depth=2
	v_add_nc_u32_e32 v30, v35, v33
	ds_load_b128 v[46:49], v30
	s_wait_dscnt 0x0
	v_add_nc_u64_e32 v[26:27], v[48:49], v[46:47]
	v_dual_mov_b32 v24, v48 :: v_dual_mov_b32 v25, v49
	ds_store_b128 v30, v[24:27]
.LBB0_131:                              ;   in Loop: Header=BB0_103 Depth=2
	s_or_b32 exec_lo, exec_lo, s33
	s_wait_dscnt 0x0
	s_barrier_signal -1
	s_barrier_wait -1
	s_barrier_signal -1
	s_barrier_wait -1
	ds_load_b64 v[24:25], v51 offset:17440
	s_wait_dscnt 0x0
	s_barrier_signal -1
	s_barrier_wait -1
	ds_load_b64 v[26:27], v35
	s_wait_dscnt 0x0
	ds_store_b64 v125, v[26:27]
	s_and_saveexec_b32 s33, s29
	s_cbranch_execz .LBB0_102
; %bb.132:                              ;   in Loop: Header=BB0_103 Depth=2
	v_mov_b32_e32 v26, s34
	ds_store_b64 v26, v[24:25] offset:16384
	s_branch .LBB0_102
.LBB0_133:                              ;   in Loop: Header=BB0_53 Depth=1
	s_wait_dscnt 0x0
	s_barrier_signal -1
	s_barrier_wait -1
	s_and_saveexec_b32 s33, s26
	s_cbranch_execz .LBB0_135
; %bb.134:                              ;   in Loop: Header=BB0_53 Depth=1
	ds_load_b32 v24, v52 offset:4096
	s_wait_dscnt 0x0
	v_lshrrev_b32_e32 v25, 16, v24
	s_delay_alu instid0(VALU_DEP_1)
	v_add_nc_u16 v24, v25, v24
	ds_store_b16 v52, v24 offset:4098
.LBB0_135:                              ;   in Loop: Header=BB0_53 Depth=1
	s_or_b32 exec_lo, exec_lo, s33
	s_wait_dscnt 0x0
	s_barrier_signal -1
	s_barrier_wait -1
	s_and_saveexec_b32 s33, s27
	s_cbranch_execz .LBB0_137
; %bb.136:                              ;   in Loop: Header=BB0_53 Depth=1
	s_clause 0x1
	scratch_load_b32 v24, off, off
	scratch_load_b32 v26, off, off offset:4
	s_wait_loadcnt 0x1
	ds_load_u16 v24, v24 offset:16382
	s_wait_loadcnt 0x0
	ds_load_u16 v25, v26 offset:16382
	s_wait_dscnt 0x0
	v_add_nc_u16 v24, v25, v24
	ds_store_b16 v26, v24 offset:16382
.LBB0_137:                              ;   in Loop: Header=BB0_53 Depth=1
	s_or_b32 exec_lo, exec_lo, s33
	s_wait_dscnt 0x0
	s_barrier_signal -1
	s_barrier_wait -1
	s_and_saveexec_b32 s33, s28
	s_cbranch_execz .LBB0_139
; %bb.138:                              ;   in Loop: Header=BB0_53 Depth=1
	scratch_load_b32 v24, off, off offset:8 ; 4-byte Folded Reload
	s_wait_loadcnt 0x0
	ds_load_u16 v24, v24 offset:16382
	ds_load_u16 v25, v127 offset:16382
	s_wait_dscnt 0x0
	v_add_nc_u16 v24, v25, v24
	ds_store_b16 v127, v24 offset:16382
.LBB0_139:                              ;   in Loop: Header=BB0_53 Depth=1
	s_or_b32 exec_lo, exec_lo, s33
	s_wait_dscnt 0x0
	s_barrier_signal -1
	s_barrier_wait -1
	s_and_saveexec_b32 s33, s29
	s_cbranch_execz .LBB0_141
; %bb.140:                              ;   in Loop: Header=BB0_53 Depth=1
	ds_load_u16 v24, v51 offset:16398
	ds_load_u16 v25, v51 offset:16414
	s_wait_dscnt 0x0
	v_add_nc_u32_e32 v24, v25, v24
	ds_store_b16 v51, v24 offset:16414
.LBB0_141:                              ;   in Loop: Header=BB0_53 Depth=1
	s_or_b32 exec_lo, exec_lo, s33
	s_wait_dscnt 0x0
	s_barrier_signal -1
	s_barrier_wait -1
	s_barrier_signal -1
	s_barrier_wait -1
	s_and_saveexec_b32 s33, s29
	s_cbranch_execz .LBB0_143
; %bb.142:                              ;   in Loop: Header=BB0_53 Depth=1
	ds_load_u16 v24, v51 offset:16414
	s_wait_dscnt 0x0
	ds_store_b16 v51, v24 offset:17448
	s_wait_dscnt 0x0
	ds_store_b16 v51, v51 offset:16414
	s_wait_dscnt 0x0
	ds_load_u16 v24, v51 offset:16398
	ds_load_u16 v25, v51 offset:16414
	s_wait_dscnt 0x0
	v_add_nc_u32_e32 v24, v25, v24
	ds_store_b16 v51, v25 offset:16398
	ds_store_b16 v51, v24 offset:16414
.LBB0_143:                              ;   in Loop: Header=BB0_53 Depth=1
	s_or_b32 exec_lo, exec_lo, s33
	s_wait_dscnt 0x0
	s_barrier_signal -1
	s_barrier_wait -1
	s_and_saveexec_b32 s33, s28
	s_cbranch_execz .LBB0_145
; %bb.144:                              ;   in Loop: Header=BB0_53 Depth=1
	scratch_load_b32 v26, off, off offset:8 ; 4-byte Folded Reload
	s_wait_loadcnt 0x0
	ds_load_u16 v24, v26 offset:16382
	ds_load_u16 v25, v127 offset:16382
	s_wait_dscnt 0x0
	v_add_nc_u16 v24, v25, v24
	ds_store_b16 v26, v25 offset:16382
	ds_store_b16 v127, v24 offset:16382
.LBB0_145:                              ;   in Loop: Header=BB0_53 Depth=1
	s_or_b32 exec_lo, exec_lo, s33
	s_wait_dscnt 0x0
	s_barrier_signal -1
	s_barrier_wait -1
	s_and_saveexec_b32 s33, s27
	s_cbranch_execz .LBB0_147
; %bb.146:                              ;   in Loop: Header=BB0_53 Depth=1
	s_clause 0x1
	scratch_load_b32 v26, off, off
	scratch_load_b32 v27, off, off offset:4
	s_wait_loadcnt 0x1
	ds_load_u16 v24, v26 offset:16382
	s_wait_loadcnt 0x0
	ds_load_u16 v25, v27 offset:16382
	s_wait_dscnt 0x0
	v_add_nc_u16 v24, v25, v24
	ds_store_b16 v26, v25 offset:16382
	ds_store_b16 v27, v24 offset:16382
.LBB0_147:                              ;   in Loop: Header=BB0_53 Depth=1
	s_or_b32 exec_lo, exec_lo, s33
	s_wait_dscnt 0x0
	s_barrier_signal -1
	s_barrier_wait -1
	s_and_saveexec_b32 s33, s26
	s_cbranch_execz .LBB0_52
; %bb.148:                              ;   in Loop: Header=BB0_53 Depth=1
	ds_load_b32 v24, v52 offset:4096
	s_wait_dscnt 0x0
	v_lshrrev_b32_e32 v25, 16, v24
	s_delay_alu instid0(VALU_DEP_1) | instskip(NEXT) | instid1(VALU_DEP_1)
	v_add_nc_u16 v25, v25, v24
	v_alignbit_b32 v24, v25, v24, 16
	ds_store_b32 v52, v24 offset:4096
	s_branch .LBB0_52
.LBB0_149:
	s_and_saveexec_b32 s23, vcc_lo
	s_cbranch_execnz .LBB0_173
; %bb.150:
	s_or_b32 exec_lo, exec_lo, s23
	s_and_saveexec_b32 s23, s0
	s_cbranch_execnz .LBB0_174
.LBB0_151:
	s_or_b32 exec_lo, exec_lo, s23
	s_and_saveexec_b32 s0, s1
	s_cbranch_execnz .LBB0_175
.LBB0_152:
	s_or_b32 exec_lo, exec_lo, s0
	s_and_saveexec_b32 s0, s2
	s_cbranch_execnz .LBB0_176
.LBB0_153:
	s_or_b32 exec_lo, exec_lo, s0
	s_and_saveexec_b32 s0, s3
	s_cbranch_execnz .LBB0_177
.LBB0_154:
	s_or_b32 exec_lo, exec_lo, s0
	s_and_saveexec_b32 s0, s4
	s_cbranch_execnz .LBB0_178
.LBB0_155:
	s_or_b32 exec_lo, exec_lo, s0
	s_and_saveexec_b32 s0, s5
	s_cbranch_execnz .LBB0_179
.LBB0_156:
	s_or_b32 exec_lo, exec_lo, s0
	s_and_saveexec_b32 s0, s6
	s_cbranch_execnz .LBB0_180
.LBB0_157:
	s_or_b32 exec_lo, exec_lo, s0
	s_and_saveexec_b32 s0, s7
	s_cbranch_execnz .LBB0_181
.LBB0_158:
	s_or_b32 exec_lo, exec_lo, s0
	s_and_saveexec_b32 s0, s8
	s_cbranch_execnz .LBB0_182
.LBB0_159:
	s_or_b32 exec_lo, exec_lo, s0
	s_and_saveexec_b32 s0, s9
	s_cbranch_execnz .LBB0_183
.LBB0_160:
	s_or_b32 exec_lo, exec_lo, s0
	s_and_saveexec_b32 s0, s10
	s_cbranch_execnz .LBB0_184
.LBB0_161:
	s_or_b32 exec_lo, exec_lo, s0
	s_and_saveexec_b32 s0, s11
	s_cbranch_execnz .LBB0_185
.LBB0_162:
	s_or_b32 exec_lo, exec_lo, s0
	s_and_saveexec_b32 s0, s12
	s_cbranch_execnz .LBB0_186
.LBB0_163:
	s_or_b32 exec_lo, exec_lo, s0
	s_and_saveexec_b32 s0, s13
	s_cbranch_execnz .LBB0_187
.LBB0_164:
	s_or_b32 exec_lo, exec_lo, s0
	s_and_saveexec_b32 s0, s14
	s_cbranch_execnz .LBB0_188
.LBB0_165:
	s_or_b32 exec_lo, exec_lo, s0
	s_and_saveexec_b32 s0, s15
	s_cbranch_execnz .LBB0_189
.LBB0_166:
	s_or_b32 exec_lo, exec_lo, s0
	s_and_saveexec_b32 s0, s16
	s_cbranch_execnz .LBB0_190
.LBB0_167:
	s_or_b32 exec_lo, exec_lo, s0
	s_and_saveexec_b32 s0, s17
	s_cbranch_execnz .LBB0_191
.LBB0_168:
	s_or_b32 exec_lo, exec_lo, s0
	s_and_saveexec_b32 s0, s18
	s_cbranch_execnz .LBB0_192
.LBB0_169:
	s_or_b32 exec_lo, exec_lo, s0
	s_and_saveexec_b32 s0, s19
	s_cbranch_execnz .LBB0_193
.LBB0_170:
	s_or_b32 exec_lo, exec_lo, s0
	s_and_saveexec_b32 s0, s20
	s_cbranch_execnz .LBB0_194
.LBB0_171:
	s_or_b32 exec_lo, exec_lo, s0
	s_and_saveexec_b32 s0, s21
	s_cbranch_execnz .LBB0_195
.LBB0_172:
	s_or_b32 exec_lo, exec_lo, s0
	s_and_saveexec_b32 s0, s22
	s_cbranch_execz .LBB0_1
	s_branch .LBB0_196
.LBB0_173:
	scratch_load_b32 v0, off, off offset:28 ; 4-byte Folded Reload
	s_wait_loadcnt_dscnt 0x5
	global_store_b32 v0, v22, s[30:31] scale_offset
	s_wait_xcnt 0x0
	s_or_b32 exec_lo, exec_lo, s23
	s_and_saveexec_b32 s23, s0
	s_cbranch_execz .LBB0_151
.LBB0_174:
	scratch_load_b32 v0, off, off offset:28 ; 4-byte Folded Reload
	s_wait_loadcnt_dscnt 0x5
	global_store_b32 v0, v23, s[30:31] offset:4 scale_offset
	s_wait_xcnt 0x0
	s_or_b32 exec_lo, exec_lo, s23
	s_and_saveexec_b32 s0, s1
	s_cbranch_execz .LBB0_152
.LBB0_175:
	scratch_load_b32 v0, off, off offset:28 ; 4-byte Folded Reload
	s_wait_loadcnt_dscnt 0x5
	global_store_b32 v0, v24, s[30:31] offset:8 scale_offset
	s_wait_xcnt 0x0
	s_or_b32 exec_lo, exec_lo, s0
	s_and_saveexec_b32 s0, s2
	s_cbranch_execz .LBB0_153
.LBB0_176:
	scratch_load_b32 v0, off, off offset:28 ; 4-byte Folded Reload
	s_wait_loadcnt_dscnt 0x5
	global_store_b32 v0, v25, s[30:31] offset:12 scale_offset
	s_wait_xcnt 0x0
	s_or_b32 exec_lo, exec_lo, s0
	s_and_saveexec_b32 s0, s3
	s_cbranch_execz .LBB0_154
.LBB0_177:
	scratch_load_b32 v0, off, off offset:28 ; 4-byte Folded Reload
	s_wait_loadcnt_dscnt 0x4
	global_store_b32 v0, v18, s[30:31] offset:16 scale_offset
	s_wait_xcnt 0x0
	s_or_b32 exec_lo, exec_lo, s0
	s_and_saveexec_b32 s0, s4
	s_cbranch_execz .LBB0_155
.LBB0_178:
	scratch_load_b32 v0, off, off offset:28 ; 4-byte Folded Reload
	s_wait_loadcnt_dscnt 0x4
	global_store_b32 v0, v19, s[30:31] offset:20 scale_offset
	s_wait_xcnt 0x0
	s_or_b32 exec_lo, exec_lo, s0
	s_and_saveexec_b32 s0, s5
	s_cbranch_execz .LBB0_156
.LBB0_179:
	scratch_load_b32 v0, off, off offset:28 ; 4-byte Folded Reload
	s_wait_loadcnt_dscnt 0x4
	global_store_b32 v0, v20, s[30:31] offset:24 scale_offset
	s_wait_xcnt 0x0
	s_or_b32 exec_lo, exec_lo, s0
	s_and_saveexec_b32 s0, s6
	s_cbranch_execz .LBB0_157
.LBB0_180:
	scratch_load_b32 v0, off, off offset:28 ; 4-byte Folded Reload
	s_wait_loadcnt_dscnt 0x4
	global_store_b32 v0, v21, s[30:31] offset:28 scale_offset
	s_wait_xcnt 0x0
	s_or_b32 exec_lo, exec_lo, s0
	s_and_saveexec_b32 s0, s7
	s_cbranch_execz .LBB0_158
.LBB0_181:
	scratch_load_b32 v0, off, off offset:28 ; 4-byte Folded Reload
	s_wait_loadcnt_dscnt 0x3
	global_store_b32 v0, v14, s[30:31] offset:32 scale_offset
	s_wait_xcnt 0x0
	s_or_b32 exec_lo, exec_lo, s0
	s_and_saveexec_b32 s0, s8
	s_cbranch_execz .LBB0_159
.LBB0_182:
	scratch_load_b32 v0, off, off offset:28 ; 4-byte Folded Reload
	s_wait_loadcnt_dscnt 0x3
	global_store_b32 v0, v15, s[30:31] offset:36 scale_offset
	s_wait_xcnt 0x0
	s_or_b32 exec_lo, exec_lo, s0
	s_and_saveexec_b32 s0, s9
	s_cbranch_execz .LBB0_160
.LBB0_183:
	scratch_load_b32 v0, off, off offset:28 ; 4-byte Folded Reload
	s_wait_loadcnt_dscnt 0x3
	global_store_b32 v0, v16, s[30:31] offset:40 scale_offset
	s_wait_xcnt 0x0
	s_or_b32 exec_lo, exec_lo, s0
	s_and_saveexec_b32 s0, s10
	s_cbranch_execz .LBB0_161
.LBB0_184:
	scratch_load_b32 v0, off, off offset:28 ; 4-byte Folded Reload
	s_wait_loadcnt_dscnt 0x3
	global_store_b32 v0, v17, s[30:31] offset:44 scale_offset
	s_wait_xcnt 0x0
	s_or_b32 exec_lo, exec_lo, s0
	s_and_saveexec_b32 s0, s11
	s_cbranch_execz .LBB0_162
.LBB0_185:
	scratch_load_b32 v0, off, off offset:28 ; 4-byte Folded Reload
	s_wait_loadcnt_dscnt 0x2
	global_store_b32 v0, v10, s[30:31] offset:48 scale_offset
	s_wait_xcnt 0x0
	s_or_b32 exec_lo, exec_lo, s0
	s_and_saveexec_b32 s0, s12
	s_cbranch_execz .LBB0_163
.LBB0_186:
	scratch_load_b32 v0, off, off offset:28 ; 4-byte Folded Reload
	s_wait_loadcnt_dscnt 0x2
	global_store_b32 v0, v11, s[30:31] offset:52 scale_offset
	s_wait_xcnt 0x0
	s_or_b32 exec_lo, exec_lo, s0
	s_and_saveexec_b32 s0, s13
	s_cbranch_execz .LBB0_164
.LBB0_187:
	scratch_load_b32 v0, off, off offset:28 ; 4-byte Folded Reload
	s_wait_loadcnt_dscnt 0x2
	global_store_b32 v0, v12, s[30:31] offset:56 scale_offset
	s_wait_xcnt 0x0
	s_or_b32 exec_lo, exec_lo, s0
	s_and_saveexec_b32 s0, s14
	s_cbranch_execz .LBB0_165
.LBB0_188:
	scratch_load_b32 v0, off, off offset:28 ; 4-byte Folded Reload
	s_wait_loadcnt_dscnt 0x2
	global_store_b32 v0, v13, s[30:31] offset:60 scale_offset
	s_wait_xcnt 0x0
	s_or_b32 exec_lo, exec_lo, s0
	s_and_saveexec_b32 s0, s15
	s_cbranch_execz .LBB0_166
.LBB0_189:
	scratch_load_b32 v0, off, off offset:28 ; 4-byte Folded Reload
	s_wait_loadcnt_dscnt 0x1
	global_store_b32 v0, v6, s[30:31] offset:64 scale_offset
	s_wait_xcnt 0x0
	s_or_b32 exec_lo, exec_lo, s0
	s_and_saveexec_b32 s0, s16
	s_cbranch_execz .LBB0_167
.LBB0_190:
	scratch_load_b32 v0, off, off offset:28 ; 4-byte Folded Reload
	s_wait_loadcnt_dscnt 0x1
	global_store_b32 v0, v7, s[30:31] offset:68 scale_offset
	s_wait_xcnt 0x0
	s_or_b32 exec_lo, exec_lo, s0
	s_and_saveexec_b32 s0, s17
	s_cbranch_execz .LBB0_168
.LBB0_191:
	scratch_load_b32 v0, off, off offset:28 ; 4-byte Folded Reload
	s_wait_loadcnt_dscnt 0x1
	global_store_b32 v0, v8, s[30:31] offset:72 scale_offset
	s_wait_xcnt 0x0
	s_or_b32 exec_lo, exec_lo, s0
	s_and_saveexec_b32 s0, s18
	s_cbranch_execz .LBB0_169
.LBB0_192:
	scratch_load_b32 v0, off, off offset:28 ; 4-byte Folded Reload
	s_wait_loadcnt_dscnt 0x1
	global_store_b32 v0, v9, s[30:31] offset:76 scale_offset
	s_wait_xcnt 0x0
	s_or_b32 exec_lo, exec_lo, s0
	s_and_saveexec_b32 s0, s19
	s_cbranch_execz .LBB0_170
.LBB0_193:
	scratch_load_b32 v0, off, off offset:28 ; 4-byte Folded Reload
	s_wait_loadcnt_dscnt 0x0
	global_store_b32 v0, v2, s[30:31] offset:80 scale_offset
	s_wait_xcnt 0x0
	s_or_b32 exec_lo, exec_lo, s0
	s_and_saveexec_b32 s0, s20
	s_cbranch_execz .LBB0_171
.LBB0_194:
	scratch_load_b32 v0, off, off offset:28 ; 4-byte Folded Reload
	s_wait_loadcnt_dscnt 0x0
	global_store_b32 v0, v3, s[30:31] offset:84 scale_offset
	s_wait_xcnt 0x0
	s_or_b32 exec_lo, exec_lo, s0
	s_and_saveexec_b32 s0, s21
	s_cbranch_execz .LBB0_172
.LBB0_195:
	scratch_load_b32 v0, off, off offset:28 ; 4-byte Folded Reload
	s_wait_loadcnt_dscnt 0x0
	global_store_b32 v0, v4, s[30:31] offset:88 scale_offset
	s_wait_xcnt 0x0
	s_or_b32 exec_lo, exec_lo, s0
	s_and_saveexec_b32 s0, s22
	s_cbranch_execz .LBB0_1
.LBB0_196:
	scratch_load_b32 v0, off, off offset:28 th:TH_LOAD_LU ; 4-byte Folded Reload
	s_wait_loadcnt_dscnt 0x0
	global_store_b32 v0, v5, s[30:31] offset:92 scale_offset
	s_sendmsg sendmsg(MSG_DEALLOC_VGPRS)
	s_endpgm
	.section	.rodata,"a",@progbits
	.p2align	6, 0x0
	.amdhsa_kernel SortSinglePassKernel
		.amdhsa_group_segment_fixed_size 17456
		.amdhsa_private_segment_fixed_size 36
		.amdhsa_kernarg_size 28
		.amdhsa_user_sgpr_count 2
		.amdhsa_user_sgpr_dispatch_ptr 0
		.amdhsa_user_sgpr_queue_ptr 0
		.amdhsa_user_sgpr_kernarg_segment_ptr 1
		.amdhsa_user_sgpr_dispatch_id 0
		.amdhsa_user_sgpr_kernarg_preload_length 0
		.amdhsa_user_sgpr_kernarg_preload_offset 0
		.amdhsa_user_sgpr_private_segment_size 0
		.amdhsa_wavefront_size32 1
		.amdhsa_uses_dynamic_stack 0
		.amdhsa_enable_private_segment 1
		.amdhsa_system_sgpr_workgroup_id_x 1
		.amdhsa_system_sgpr_workgroup_id_y 0
		.amdhsa_system_sgpr_workgroup_id_z 0
		.amdhsa_system_sgpr_workgroup_info 0
		.amdhsa_system_vgpr_workitem_id 0
		.amdhsa_next_free_vgpr 128
		.amdhsa_next_free_sgpr 42
		.amdhsa_named_barrier_count 0
		.amdhsa_reserve_vcc 1
		.amdhsa_float_round_mode_32 0
		.amdhsa_float_round_mode_16_64 0
		.amdhsa_float_denorm_mode_32 3
		.amdhsa_float_denorm_mode_16_64 3
		.amdhsa_fp16_overflow 0
		.amdhsa_memory_ordered 1
		.amdhsa_forward_progress 1
		.amdhsa_inst_pref_size 109
		.amdhsa_round_robin_scheduling 0
		.amdhsa_exception_fp_ieee_invalid_op 0
		.amdhsa_exception_fp_denorm_src 0
		.amdhsa_exception_fp_ieee_div_zero 0
		.amdhsa_exception_fp_ieee_overflow 0
		.amdhsa_exception_fp_ieee_underflow 0
		.amdhsa_exception_fp_ieee_inexact 0
		.amdhsa_exception_int_div_zero 0
	.end_amdhsa_kernel
	.text
.Lfunc_end0:
	.size	SortSinglePassKernel, .Lfunc_end0-SortSinglePassKernel
                                        ; -- End function
	.set SortSinglePassKernel.num_vgpr, 128
	.set SortSinglePassKernel.num_agpr, 0
	.set SortSinglePassKernel.numbered_sgpr, 42
	.set SortSinglePassKernel.num_named_barrier, 0
	.set SortSinglePassKernel.private_seg_size, 36
	.set SortSinglePassKernel.uses_vcc, 1
	.set SortSinglePassKernel.uses_flat_scratch, 1
	.set SortSinglePassKernel.has_dyn_sized_stack, 0
	.set SortSinglePassKernel.has_recursion, 0
	.set SortSinglePassKernel.has_indirect_call, 0
	.section	.AMDGPU.csdata,"",@progbits
; Kernel info:
; codeLenInByte = 13904
; TotalNumSgprs: 44
; NumVgprs: 128
; ScratchSize: 36
; MemoryBound: 0
; FloatMode: 240
; IeeeMode: 1
; LDSByteSize: 17456 bytes/workgroup (compile time only)
; SGPRBlocks: 0
; VGPRBlocks: 7
; NumSGPRsForWavesPerEU: 44
; NumVGPRsForWavesPerEU: 128
; NamedBarCnt: 0
; Occupancy: 8
; WaveLimiterHint : 0
; COMPUTE_PGM_RSRC2:SCRATCH_EN: 1
; COMPUTE_PGM_RSRC2:USER_SGPR: 2
; COMPUTE_PGM_RSRC2:TRAP_HANDLER: 0
; COMPUTE_PGM_RSRC2:TGID_X_EN: 1
; COMPUTE_PGM_RSRC2:TGID_Y_EN: 0
; COMPUTE_PGM_RSRC2:TGID_Z_EN: 0
; COMPUTE_PGM_RSRC2:TIDIG_COMP_CNT: 0
	.text
	.protected	SortSinglePassKVKernel  ; -- Begin function SortSinglePassKVKernel
	.globl	SortSinglePassKVKernel
	.p2align	8
	.type	SortSinglePassKVKernel,@function
SortSinglePassKVKernel:                 ; @SortSinglePassKVKernel
; %bb.0:
	s_bfe_u32 s2, ttmp6, 0x4000c
	s_and_b32 s3, ttmp6, 15
	s_add_co_i32 s2, s2, 1
	s_getreg_b32 s4, hwreg(HW_REG_IB_STS2, 6, 4)
	s_mul_i32 s2, ttmp9, s2
	s_delay_alu instid0(SALU_CYCLE_1) | instskip(SKIP_2) | instid1(SALU_CYCLE_1)
	s_add_co_i32 s3, s3, s2
	s_cmp_eq_u32 s4, 0
	s_cselect_b32 s2, ttmp9, s3
	s_cmp_lg_u32 s2, 0
	s_cbranch_scc0 .LBB1_2
.LBB1_1:
	s_sendmsg sendmsg(MSG_DEALLOC_VGPRS)
	s_endpgm
.LBB1_2:
	s_clause 0x1
	s_load_b96 s[44:46], s[0:1], 0x20
	s_load_b256 s[36:43], s[0:1], 0x0
	v_mul_u32_u24_e32 v6, 24, v0
	v_dual_mov_b32 v3, -1 :: v_dual_mov_b32 v2, -1
	v_mov_b32_e32 v54, -1
	s_wait_kmcnt 0x0
	s_delay_alu instid0(VALU_DEP_3)
	v_cmp_gt_i32_e32 vcc_lo, s44, v6
	s_and_saveexec_b32 s0, vcc_lo
	s_cbranch_execz .LBB1_4
; %bb.3:
	s_clause 0x1
	global_load_b32 v2, v6, s[36:37] scale_offset
	global_load_b32 v54, v6, s[38:39] scale_offset
.LBB1_4:
	s_wait_xcnt 0x0
	s_or_b32 exec_lo, exec_lo, s0
	v_dual_lshlrev_b32 v4, 2, v6 :: v_dual_bitop2_b32 v1, 1, v6 bitop3:0x54
	v_mov_b32_e32 v55, -1
	s_delay_alu instid0(VALU_DEP_2) | instskip(NEXT) | instid1(VALU_DEP_3)
	v_add_nc_u32_e32 v5, 0x3000, v4
	v_cmp_gt_i32_e64 s0, s44, v1
	s_wait_loadcnt 0x0
	ds_store_2addr_stride64_b32 v4, v2, v54 offset1:48
	s_clause 0x1
	scratch_store_b32 off, v4, off offset:4
	scratch_store_b32 off, v5, off
	s_wait_xcnt 0x0
	s_and_saveexec_b32 s1, s0
	s_cbranch_execz .LBB1_6
; %bb.5:
	s_clause 0x1
	global_load_b32 v3, v6, s[36:37] offset:4 scale_offset
	global_load_b32 v55, v6, s[38:39] offset:4 scale_offset
.LBB1_6:
	s_wait_xcnt 0x0
	s_or_b32 exec_lo, exec_lo, s1
	v_dual_mov_b32 v5, -1 :: v_dual_bitop2_b32 v1, 2, v6 bitop3:0x54
	v_dual_mov_b32 v4, -1 :: v_dual_mov_b32 v56, -1
	s_delay_alu instid0(VALU_DEP_2)
	v_cmp_gt_i32_e64 s1, s44, v1
	v_lshlrev_b32_e32 v1, 2, v6
	s_wait_loadcnt 0x1
	ds_store_b32 v1, v3 offset:4
	scratch_load_b32 v1, off, off           ; 4-byte Folded Reload
	s_wait_loadcnt 0x0
	ds_store_b32 v1, v55 offset:4
	s_wait_xcnt 0x0
	s_and_saveexec_b32 s2, s1
	s_cbranch_execz .LBB1_8
; %bb.7:
	s_clause 0x1
	global_load_b32 v4, v6, s[36:37] offset:8 scale_offset
	global_load_b32 v56, v6, s[38:39] offset:8 scale_offset
.LBB1_8:
	s_wait_xcnt 0x0
	s_or_b32 exec_lo, exec_lo, s2
	v_dual_mov_b32 v57, -1 :: v_dual_bitop2_b32 v1, 3, v6 bitop3:0x54
	s_delay_alu instid0(VALU_DEP_1)
	v_cmp_gt_i32_e64 s2, s44, v1
	v_lshlrev_b32_e32 v1, 2, v6
	s_wait_loadcnt 0x1
	ds_store_b32 v1, v4 offset:8
	scratch_load_b32 v1, off, off           ; 4-byte Folded Reload
	s_wait_loadcnt 0x0
	ds_store_b32 v1, v56 offset:8
	s_wait_xcnt 0x0
	s_and_saveexec_b32 s3, s2
	s_cbranch_execz .LBB1_10
; %bb.9:
	s_clause 0x1
	global_load_b32 v5, v6, s[36:37] offset:12 scale_offset
	global_load_b32 v57, v6, s[38:39] offset:12 scale_offset
.LBB1_10:
	s_wait_xcnt 0x0
	s_or_b32 exec_lo, exec_lo, s3
	v_dual_mov_b32 v11, -1 :: v_dual_bitop2_b32 v1, 4, v6 bitop3:0x54
	v_dual_mov_b32 v10, -1 :: v_dual_mov_b32 v14, -1
	s_delay_alu instid0(VALU_DEP_2)
	v_cmp_gt_i32_e64 s3, s44, v1
	v_lshlrev_b32_e32 v1, 2, v6
	s_wait_loadcnt 0x1
	ds_store_b32 v1, v5 offset:12
	scratch_load_b32 v1, off, off           ; 4-byte Folded Reload
	s_wait_loadcnt 0x0
	ds_store_b32 v1, v57 offset:12
	s_wait_xcnt 0x0
	s_and_saveexec_b32 s4, s3
	s_cbranch_execz .LBB1_12
; %bb.11:
	s_clause 0x1
	global_load_b32 v10, v6, s[36:37] offset:16 scale_offset
	global_load_b32 v14, v6, s[38:39] offset:16 scale_offset
.LBB1_12:
	s_wait_xcnt 0x0
	s_or_b32 exec_lo, exec_lo, s4
	v_dual_mov_b32 v15, -1 :: v_dual_bitop2_b32 v1, 5, v6 bitop3:0x54
	s_delay_alu instid0(VALU_DEP_1)
	v_cmp_gt_i32_e64 s4, s44, v1
	v_lshlrev_b32_e32 v1, 2, v6
	s_wait_loadcnt 0x1
	ds_store_b32 v1, v10 offset:16
	scratch_load_b32 v1, off, off           ; 4-byte Folded Reload
	s_wait_loadcnt 0x0
	ds_store_b32 v1, v14 offset:16
	;; [unrolled: 39-line block ×3, first 2 shown]
	s_wait_xcnt 0x0
	s_and_saveexec_b32 s7, s6
	s_cbranch_execz .LBB1_18
; %bb.17:
	s_clause 0x1
	global_load_b32 v13, v6, s[36:37] offset:28 scale_offset
	global_load_b32 v17, v6, s[38:39] offset:28 scale_offset
.LBB1_18:
	s_wait_xcnt 0x0
	s_or_b32 exec_lo, exec_lo, s7
	v_dual_add_nc_u32 v1, 8, v6 :: v_dual_mov_b32 v19, -1
	v_dual_mov_b32 v18, -1 :: v_dual_mov_b32 v22, -1
	s_delay_alu instid0(VALU_DEP_2)
	v_cmp_gt_i32_e64 s7, s44, v1
	v_lshlrev_b32_e32 v1, 2, v6
	s_wait_loadcnt 0x1
	ds_store_b32 v1, v13 offset:28
	scratch_load_b32 v1, off, off           ; 4-byte Folded Reload
	s_wait_loadcnt 0x0
	ds_store_b32 v1, v17 offset:28
	s_wait_xcnt 0x0
	s_and_saveexec_b32 s8, s7
	s_cbranch_execz .LBB1_20
; %bb.19:
	s_clause 0x1
	global_load_b32 v18, v6, s[36:37] offset:32 scale_offset
	global_load_b32 v22, v6, s[38:39] offset:32 scale_offset
.LBB1_20:
	s_wait_xcnt 0x0
	s_or_b32 exec_lo, exec_lo, s8
	v_dual_add_nc_u32 v1, 9, v6 :: v_dual_mov_b32 v23, -1
	s_delay_alu instid0(VALU_DEP_1)
	v_cmp_gt_i32_e64 s8, s44, v1
	v_lshlrev_b32_e32 v1, 2, v6
	s_wait_loadcnt 0x1
	ds_store_b32 v1, v18 offset:32
	scratch_load_b32 v1, off, off           ; 4-byte Folded Reload
	s_wait_loadcnt 0x0
	ds_store_b32 v1, v22 offset:32
	s_wait_xcnt 0x0
	s_and_saveexec_b32 s9, s8
	s_cbranch_execz .LBB1_22
; %bb.21:
	s_clause 0x1
	global_load_b32 v19, v6, s[36:37] offset:36 scale_offset
	global_load_b32 v23, v6, s[38:39] offset:36 scale_offset
.LBB1_22:
	s_wait_xcnt 0x0
	s_or_b32 exec_lo, exec_lo, s9
	v_dual_add_nc_u32 v1, 10, v6 :: v_dual_mov_b32 v21, -1
	v_dual_mov_b32 v20, -1 :: v_dual_mov_b32 v24, -1
	s_delay_alu instid0(VALU_DEP_2)
	v_cmp_gt_i32_e64 s9, s44, v1
	v_lshlrev_b32_e32 v1, 2, v6
	s_wait_loadcnt 0x1
	ds_store_b32 v1, v19 offset:36
	scratch_load_b32 v1, off, off           ; 4-byte Folded Reload
	s_wait_loadcnt 0x0
	ds_store_b32 v1, v23 offset:36
	s_wait_xcnt 0x0
	s_and_saveexec_b32 s10, s9
	s_cbranch_execz .LBB1_24
; %bb.23:
	s_clause 0x1
	global_load_b32 v20, v6, s[36:37] offset:40 scale_offset
	global_load_b32 v24, v6, s[38:39] offset:40 scale_offset
.LBB1_24:
	s_wait_xcnt 0x0
	s_or_b32 exec_lo, exec_lo, s10
	v_dual_add_nc_u32 v1, 11, v6 :: v_dual_mov_b32 v25, -1
	s_delay_alu instid0(VALU_DEP_1)
	v_cmp_gt_i32_e64 s10, s44, v1
	v_lshlrev_b32_e32 v1, 2, v6
	s_wait_loadcnt 0x1
	ds_store_b32 v1, v20 offset:40
	scratch_load_b32 v1, off, off           ; 4-byte Folded Reload
	s_wait_loadcnt 0x0
	ds_store_b32 v1, v24 offset:40
	;; [unrolled: 39-line block ×7, first 2 shown]
	s_wait_xcnt 0x0
	s_and_saveexec_b32 s21, s20
	s_cbranch_execz .LBB1_46
; %bb.45:
	s_clause 0x1
	global_load_b32 v43, v6, s[36:37] offset:84 scale_offset
	global_load_b32 v47, v6, s[38:39] offset:84 scale_offset
.LBB1_46:
	s_wait_xcnt 0x0
	s_or_b32 exec_lo, exec_lo, s21
	v_dual_add_nc_u32 v1, 22, v6 :: v_dual_mov_b32 v45, -1
	v_dual_mov_b32 v44, -1 :: v_dual_mov_b32 v48, -1
	s_delay_alu instid0(VALU_DEP_2)
	v_cmp_gt_i32_e64 s21, s44, v1
	v_lshlrev_b32_e32 v1, 2, v6
	s_wait_loadcnt 0x1
	ds_store_b32 v1, v43 offset:84
	scratch_load_b32 v1, off, off           ; 4-byte Folded Reload
	s_wait_loadcnt 0x0
	ds_store_b32 v1, v47 offset:84
	s_wait_xcnt 0x0
	s_and_saveexec_b32 s22, s21
	s_cbranch_execz .LBB1_48
; %bb.47:
	s_clause 0x1
	global_load_b32 v44, v6, s[36:37] offset:88 scale_offset
	global_load_b32 v48, v6, s[38:39] offset:88 scale_offset
.LBB1_48:
	s_wait_xcnt 0x0
	s_or_b32 exec_lo, exec_lo, s22
	v_dual_add_nc_u32 v1, 23, v6 :: v_dual_mov_b32 v49, -1
	scratch_store_b32 off, v6, off offset:132 ; 4-byte Folded Spill
	v_cmp_gt_i32_e64 s22, s44, v1
	scratch_load_b32 v1, off, off offset:4  ; 4-byte Folded Reload
	s_wait_loadcnt 0x0
	ds_store_b32 v1, v44 offset:88
	scratch_load_b32 v1, off, off           ; 4-byte Folded Reload
	s_wait_loadcnt 0x0
	ds_store_b32 v1, v48 offset:88
	s_wait_xcnt 0x0
	s_and_saveexec_b32 s23, s22
	s_cbranch_execz .LBB1_50
; %bb.49:
	v_mul_u32_u24_e32 v1, 24, v0
	s_clause 0x1
	global_load_b32 v45, v1, s[36:37] offset:92 scale_offset
	global_load_b32 v49, v1, s[38:39] offset:92 scale_offset
.LBB1_50:
	s_wait_xcnt 0x0
	s_or_b32 exec_lo, exec_lo, s23
	scratch_load_b32 v1, off, off offset:4  ; 4-byte Folded Reload
	s_cmp_lt_i32 s45, s46
	s_wait_loadcnt 0x0
	ds_store_b32 v1, v45 offset:92
	scratch_load_b32 v1, off, off           ; 4-byte Folded Reload
	s_wait_loadcnt 0x0
	ds_store_b32 v1, v49 offset:92
	s_wait_storecnt_dscnt 0x0
	s_barrier_signal -1
	s_barrier_wait -1
	s_cbranch_scc0 .LBB1_150
; %bb.51:
	v_dual_lshlrev_b32 v59, 3, v0 :: v_dual_lshlrev_b32 v1, 1, v0
	v_lshl_add_u32 v60, v0, 5, 0x6000
	v_cmp_gt_u32_e64 s23, 64, v0
	v_cmp_gt_u32_e64 s24, 32, v0
	;; [unrolled: 1-line block ×3, first 2 shown]
	v_dual_add_nc_u32 v1, 2, v1 :: v_dual_bitop2_b32 v6, 1, v1 bitop3:0x54
	v_cmp_gt_u32_e64 s26, 8, v0
	v_cmp_gt_u32_e64 s27, 4, v0
	;; [unrolled: 1-line block ×3, first 2 shown]
	s_delay_alu instid0(VALU_DEP_4)
	v_lshlrev_b32_e32 v7, 2, v6
	v_cmp_eq_u32_e64 s29, 0, v0
	v_dual_lshlrev_b32 v62, 4, v1 :: v_dual_lshlrev_b32 v63, 4, v6
	v_dual_lshlrev_b32 v64, 5, v1 :: v_dual_lshlrev_b32 v65, 5, v6
	;; [unrolled: 1-line block ×5, first 2 shown]
	v_mul_i32_i24_e32 v0, 0xffffffe4, v0
	v_lshlrev_b32_e32 v6, 3, v6
	scratch_store_b32 off, v7, off offset:8 ; 4-byte Folded Spill
	s_wait_xcnt 0x0
	v_dual_lshlrev_b32 v7, 2, v1 :: v_dual_lshlrev_b32 v1, 3, v1
	s_mov_b32 s30, 0
	v_add_nc_u32_e32 v0, v60, v0
	s_mov_b32 s31, s30
	s_clause 0x3
	scratch_store_b32 off, v7, off offset:12
	scratch_store_b32 off, v1, off offset:20
	;; [unrolled: 1-line block ×4, first 2 shown]
	s_wait_xcnt 0x1
	v_mov_b64_e32 v[6:7], s[30:31]
	s_mov_b32 s34, s30
	s_mov_b32 s35, s30
	v_mov_b64_e32 v[52:53], 0
	v_dual_mov_b32 v76, 0 :: v_dual_add_nc_u32 v61, 0x7020, v59
	scratch_store_b64 off, v[6:7], off offset:116 ; 8-byte Folded Spill
	s_wait_xcnt 0x0
	v_mov_b64_e32 v[6:7], s[34:35]
	s_clause 0x1
	scratch_store_b128 off, v[54:57], off offset:28
	scratch_store_b64 off, v[6:7], off offset:124
.LBB1_52:                               ; =>This Loop Header: Depth=1
                                        ;     Child Loop BB1_54 Depth 2
                                        ;     Child Loop BB1_102 Depth 2
	v_ashrrev_i32_e32 v0, s45, v2
	s_mov_b32 s30, 0
	s_delay_alu instid0(VALU_DEP_1) | instskip(NEXT) | instid1(VALU_DEP_1)
	v_lshrrev_b32_e32 v1, 2, v0
	v_and_b32_e32 v116, 3, v1
	v_and_b32_e32 v0, 3, v0
	s_delay_alu instid0(VALU_DEP_1) | instskip(NEXT) | instid1(VALU_DEP_3)
	v_lshlrev_b32_e32 v119, 1, v0
	v_lshlrev_b32_e32 v0, 3, v116
	s_delay_alu instid0(VALU_DEP_1)
	v_add3_u32 v77, v60, v0, v119
	s_clause 0x1
	scratch_load_b64 v[0:1], off, off offset:116
	scratch_load_b64 v[6:7], off, off offset:124
	s_wait_loadcnt 0x0
	ds_store_2addr_b64 v60, v[0:1], v[6:7] offset1:1
	ds_store_2addr_b64 v60, v[0:1], v[6:7] offset0:2 offset1:3
	ds_load_u16 v0, v77
	v_ashrrev_i32_e32 v1, s45, v3
	s_delay_alu instid0(VALU_DEP_1) | instskip(NEXT) | instid1(VALU_DEP_1)
	v_dual_lshrrev_b32 v6, 2, v1 :: v_dual_bitop2_b32 v1, 3, v1 bitop3:0x40
	v_dual_lshlrev_b32 v90, 1, v1 :: v_dual_bitop2_b32 v6, 3, v6 bitop3:0x40
	s_delay_alu instid0(VALU_DEP_1)
	v_lshlrev_b32_e32 v1, 3, v6
	scratch_store_b32 off, v6, off offset:92 ; 4-byte Folded Spill
	s_wait_dscnt 0x0
	v_add_nc_u16 v0, v0, 1
	v_add3_u32 v72, v60, v1, v90
	v_ashrrev_i32_e32 v1, s45, v4
	ds_store_b16 v77, v0
	ds_load_u16 v0, v72
	s_wait_xcnt 0x0
	v_dual_lshrrev_b32 v6, 2, v1 :: v_dual_bitop2_b32 v1, 3, v1 bitop3:0x40
	s_delay_alu instid0(VALU_DEP_1) | instskip(NEXT) | instid1(VALU_DEP_1)
	v_dual_lshlrev_b32 v92, 1, v1 :: v_dual_bitop2_b32 v6, 3, v6 bitop3:0x40
	v_lshlrev_b32_e32 v1, 3, v6
	scratch_store_b32 off, v6, off offset:100 ; 4-byte Folded Spill
	v_add3_u32 v75, v60, v1, v92
	v_ashrrev_i32_e32 v1, s45, v5
	s_wait_dscnt 0x0
	v_add_nc_u16 v0, v0, 1
	s_wait_xcnt 0x0
	s_delay_alu instid0(VALU_DEP_2) | instskip(SKIP_3) | instid1(VALU_DEP_1)
	v_dual_lshrrev_b32 v6, 2, v1 :: v_dual_bitop2_b32 v1, 3, v1 bitop3:0x40
	ds_store_b16 v72, v0
	ds_load_u16 v0, v75
	v_dual_lshlrev_b32 v7, 1, v1 :: v_dual_bitop2_b32 v6, 3, v6 bitop3:0x40
	v_lshlrev_b32_e32 v1, 3, v6
	s_clause 0x1
	scratch_store_b32 off, v6, off offset:72
	scratch_store_b32 off, v7, off offset:96
	v_add3_u32 v56, v60, v1, v7
	v_ashrrev_i32_e32 v1, s45, v10
	s_wait_xcnt 0x1
	s_delay_alu instid0(VALU_DEP_1) | instskip(SKIP_2) | instid1(VALU_DEP_2)
	v_dual_lshrrev_b32 v6, 2, v1 :: v_dual_bitop2_b32 v1, 3, v1 bitop3:0x40
	s_wait_dscnt 0x0
	v_add_nc_u16 v0, v0, 1
	v_dual_lshlrev_b32 v95, 1, v1 :: v_dual_bitop2_b32 v6, 3, v6 bitop3:0x40
	ds_store_b16 v75, v0
	ds_load_u16 v0, v56
	v_lshlrev_b32_e32 v1, 3, v6
	scratch_store_b32 off, v6, off offset:84 ; 4-byte Folded Spill
	v_add3_u32 v57, v60, v1, v95
	v_ashrrev_i32_e32 v1, s45, v11
	s_wait_xcnt 0x0
	s_delay_alu instid0(VALU_DEP_1) | instskip(NEXT) | instid1(VALU_DEP_1)
	v_lshrrev_b32_e32 v6, 2, v1
	v_and_b32_e32 v6, 3, v6
	v_and_b32_e32 v1, 3, v1
	s_wait_dscnt 0x0
	v_add_nc_u16 v0, v0, 1
	s_delay_alu instid0(VALU_DEP_2)
	v_dual_lshlrev_b32 v7, 1, v1 :: v_dual_lshlrev_b32 v1, 3, v6
	ds_store_b16 v56, v0
	ds_load_u16 v0, v57
	s_clause 0x1
	scratch_store_b32 off, v6, off offset:56
	scratch_store_b32 off, v7, off offset:76
	v_add3_u32 v55, v60, v1, v7
	v_ashrrev_i32_e32 v1, s45, v12
	s_wait_xcnt 0x1
	s_delay_alu instid0(VALU_DEP_1) | instskip(NEXT) | instid1(VALU_DEP_1)
	v_lshrrev_b32_e32 v6, 2, v1
	v_and_b32_e32 v6, 3, v6
	v_and_b32_e32 v1, 3, v1
	s_wait_xcnt 0x0
	s_delay_alu instid0(VALU_DEP_1)
	v_dual_lshlrev_b32 v7, 1, v1 :: v_dual_lshlrev_b32 v1, 3, v6
	s_wait_dscnt 0x0
	v_add_nc_u16 v0, v0, 1
	s_clause 0x1
	scratch_store_b32 off, v6, off offset:64
	scratch_store_b32 off, v7, off offset:88
	v_add3_u32 v58, v60, v1, v7
	ds_store_b16 v57, v0
	ds_load_u16 v0, v55
	v_ashrrev_i32_e32 v1, s45, v13
	s_wait_xcnt 0x1
	s_delay_alu instid0(VALU_DEP_1) | instskip(NEXT) | instid1(VALU_DEP_1)
	v_lshrrev_b32_e32 v6, 2, v1
	v_and_b32_e32 v6, 3, v6
	v_and_b32_e32 v1, 3, v1
	s_wait_xcnt 0x0
	s_delay_alu instid0(VALU_DEP_1)
	v_dual_lshlrev_b32 v7, 1, v1 :: v_dual_lshlrev_b32 v1, 3, v6
	scratch_store_b32 off, v6, off offset:44 ; 4-byte Folded Spill
	s_wait_dscnt 0x0
	v_add_nc_u16 v0, v0, 1
	v_add3_u32 v73, v60, v1, v7
	v_ashrrev_i32_e32 v1, s45, v18
	ds_store_b16 v55, v0
	ds_load_u16 v0, v58
	s_wait_xcnt 0x0
	v_dual_lshrrev_b32 v6, 2, v1 :: v_dual_bitop2_b32 v1, 3, v1 bitop3:0x40
	s_delay_alu instid0(VALU_DEP_1)
	v_and_b32_e32 v6, 3, v6
	scratch_store_b32 off, v7, off offset:48 ; 4-byte Folded Spill
	s_wait_xcnt 0x0
	v_dual_lshlrev_b32 v7, 1, v1 :: v_dual_lshlrev_b32 v1, 3, v6
	s_clause 0x1
	scratch_store_b32 off, v6, off offset:52
	scratch_store_b32 off, v7, off offset:68
	v_add3_u32 v79, v60, v1, v7
	v_ashrrev_i32_e32 v1, s45, v19
	s_wait_dscnt 0x0
	v_add_nc_u16 v0, v0, 1
	s_wait_xcnt 0x1
	s_delay_alu instid0(VALU_DEP_2) | instskip(SKIP_4) | instid1(VALU_DEP_1)
	v_dual_lshrrev_b32 v6, 2, v1 :: v_dual_bitop2_b32 v1, 3, v1 bitop3:0x40
	ds_store_b16 v58, v0
	ds_load_u16 v0, v73
	s_wait_xcnt 0x0
	v_dual_lshlrev_b32 v7, 1, v1 :: v_dual_bitop2_b32 v6, 3, v6 bitop3:0x40
	v_lshlrev_b32_e32 v1, 3, v6
	s_clause 0x1
	scratch_store_b32 off, v6, off offset:60
	scratch_store_b32 off, v7, off offset:80
	v_add3_u32 v81, v60, v1, v7
	v_ashrrev_i32_e32 v1, s45, v20
	s_wait_xcnt 0x1
	s_delay_alu instid0(VALU_DEP_1) | instskip(SKIP_2) | instid1(VALU_DEP_2)
	v_dual_lshrrev_b32 v6, 2, v1 :: v_dual_bitop2_b32 v1, 3, v1 bitop3:0x40
	s_wait_dscnt 0x0
	v_add_nc_u16 v0, v0, 1
	v_dual_lshlrev_b32 v94, 1, v1 :: v_dual_bitop2_b32 v96, 3, v6 bitop3:0x40
	ds_store_b16 v73, v0
	ds_load_u16 v0, v79
	v_lshlrev_b32_e32 v1, 3, v96
	s_delay_alu instid0(VALU_DEP_1) | instskip(SKIP_1) | instid1(VALU_DEP_1)
	v_add3_u32 v93, v60, v1, v94
	v_ashrrev_i32_e32 v1, s45, v21
	v_dual_lshrrev_b32 v6, 2, v1 :: v_dual_bitop2_b32 v1, 3, v1 bitop3:0x40
	s_delay_alu instid0(VALU_DEP_1) | instskip(SKIP_2) | instid1(VALU_DEP_2)
	v_dual_lshlrev_b32 v102, 1, v1 :: v_dual_bitop2_b32 v91, 3, v6 bitop3:0x40
	s_wait_dscnt 0x0
	v_add_nc_u16 v0, v0, 1
	v_lshlrev_b32_e32 v1, 3, v91
	ds_store_b16 v79, v0
	ds_load_u16 v0, v81
	v_add3_u32 v97, v60, v1, v102
	v_ashrrev_i32_e32 v1, s45, v26
	s_delay_alu instid0(VALU_DEP_1) | instskip(NEXT) | instid1(VALU_DEP_1)
	v_dual_lshrrev_b32 v6, 2, v1 :: v_dual_bitop2_b32 v1, 3, v1 bitop3:0x40
	v_dual_lshlrev_b32 v107, 1, v1 :: v_dual_bitop2_b32 v104, 3, v6 bitop3:0x40
	s_delay_alu instid0(VALU_DEP_1) | instskip(SKIP_2) | instid1(VALU_DEP_2)
	v_lshlrev_b32_e32 v1, 3, v104
	s_wait_dscnt 0x0
	v_add_nc_u16 v0, v0, 1
	v_add3_u32 v103, v60, v1, v107
	v_ashrrev_i32_e32 v1, s45, v27
	ds_store_b16 v81, v0
	ds_load_u16 v0, v93
	v_lshrrev_b32_e32 v6, 2, v1
	s_delay_alu instid0(VALU_DEP_1) | instskip(SKIP_1) | instid1(VALU_DEP_1)
	v_and_b32_e32 v106, 3, v6
	v_and_b32_e32 v1, 3, v1
	v_dual_lshlrev_b32 v108, 1, v1 :: v_dual_lshlrev_b32 v1, 3, v106
	s_wait_dscnt 0x0
	v_add_nc_u16 v0, v0, 1
	s_delay_alu instid0(VALU_DEP_2) | instskip(SKIP_4) | instid1(VALU_DEP_1)
	v_add3_u32 v105, v60, v1, v108
	v_ashrrev_i32_e32 v1, s45, v28
	ds_store_b16 v93, v0
	ds_load_u16 v0, v97
	v_lshrrev_b32_e32 v6, 2, v1
	v_and_b32_e32 v110, 3, v6
	v_and_b32_e32 v1, 3, v1
	s_delay_alu instid0(VALU_DEP_1) | instskip(NEXT) | instid1(VALU_DEP_1)
	v_dual_lshlrev_b32 v111, 1, v1 :: v_dual_lshlrev_b32 v1, 3, v110
	v_add3_u32 v109, v60, v1, v111
	v_ashrrev_i32_e32 v1, s45, v29
	s_wait_dscnt 0x0
	v_add_nc_u16 v0, v0, 1
	s_delay_alu instid0(VALU_DEP_2) | instskip(SKIP_4) | instid1(VALU_DEP_1)
	v_lshrrev_b32_e32 v6, 2, v1
	ds_store_b16 v97, v0
	ds_load_u16 v0, v103
	v_and_b32_e32 v112, 3, v6
	v_and_b32_e32 v1, 3, v1
	v_dual_lshlrev_b32 v114, 1, v1 :: v_dual_lshlrev_b32 v1, 3, v112
	s_delay_alu instid0(VALU_DEP_1) | instskip(SKIP_3) | instid1(VALU_DEP_2)
	v_add3_u32 v113, v60, v1, v114
	v_ashrrev_i32_e32 v1, s45, v34
	s_wait_dscnt 0x0
	v_add_nc_u16 v0, v0, 1
	v_dual_lshrrev_b32 v6, 2, v1 :: v_dual_bitop2_b32 v1, 3, v1 bitop3:0x40
	ds_store_b16 v103, v0
	ds_load_u16 v0, v105
	v_dual_lshlrev_b32 v120, 1, v1 :: v_dual_bitop2_b32 v117, 3, v6 bitop3:0x40
	s_delay_alu instid0(VALU_DEP_1) | instskip(NEXT) | instid1(VALU_DEP_1)
	v_lshlrev_b32_e32 v1, 3, v117
	v_add3_u32 v118, v60, v1, v120
	v_ashrrev_i32_e32 v1, s45, v35
	s_delay_alu instid0(VALU_DEP_1) | instskip(SKIP_2) | instid1(VALU_DEP_2)
	v_dual_lshrrev_b32 v6, 2, v1 :: v_dual_bitop2_b32 v1, 3, v1 bitop3:0x40
	s_wait_dscnt 0x0
	v_add_nc_u16 v0, v0, 1
	v_dual_lshlrev_b32 v123, 1, v1 :: v_dual_bitop2_b32 v121, 3, v6 bitop3:0x40
	ds_store_b16 v105, v0
	ds_load_u16 v0, v109
	v_lshlrev_b32_e32 v1, 3, v121
	s_delay_alu instid0(VALU_DEP_1) | instskip(SKIP_1) | instid1(VALU_DEP_1)
	v_add3_u32 v122, v60, v1, v123
	v_ashrrev_i32_e32 v1, s45, v36
	v_dual_lshrrev_b32 v6, 2, v1 :: v_dual_bitop2_b32 v1, 3, v1 bitop3:0x40
	s_delay_alu instid0(VALU_DEP_1) | instskip(SKIP_2) | instid1(VALU_DEP_2)
	v_dual_lshlrev_b32 v126, 1, v1 :: v_dual_bitop2_b32 v124, 3, v6 bitop3:0x40
	s_wait_dscnt 0x0
	v_add_nc_u16 v0, v0, 1
	v_lshlrev_b32_e32 v1, 3, v124
	ds_store_b16 v109, v0
	ds_load_u16 v0, v113
	v_add3_u32 v125, v60, v1, v126
	v_ashrrev_i32_e32 v1, s45, v37
	s_delay_alu instid0(VALU_DEP_1) | instskip(NEXT) | instid1(VALU_DEP_1)
	v_dual_lshrrev_b32 v6, 2, v1 :: v_dual_bitop2_b32 v1, 3, v1 bitop3:0x40
	v_dual_lshlrev_b32 v78, 1, v1 :: v_dual_bitop2_b32 v127, 3, v6 bitop3:0x40
	s_delay_alu instid0(VALU_DEP_1) | instskip(SKIP_2) | instid1(VALU_DEP_2)
	v_lshlrev_b32_e32 v1, 3, v127
	s_wait_dscnt 0x0
	v_add_nc_u16 v0, v0, 1
	v_add3_u32 v74, v60, v1, v78
	v_ashrrev_i32_e32 v1, s45, v42
	ds_store_b16 v113, v0
	ds_load_u16 v0, v118
	v_dual_lshrrev_b32 v6, 2, v1 :: v_dual_bitop2_b32 v1, 3, v1 bitop3:0x40
	s_delay_alu instid0(VALU_DEP_1) | instskip(NEXT) | instid1(VALU_DEP_1)
	v_dual_lshlrev_b32 v84, 1, v1 :: v_dual_bitop2_b32 v82, 3, v6 bitop3:0x40
	v_lshlrev_b32_e32 v1, 3, v82
	s_delay_alu instid0(VALU_DEP_1) | instskip(SKIP_3) | instid1(VALU_DEP_2)
	v_add3_u32 v115, v60, v1, v84
	v_ashrrev_i32_e32 v1, s45, v43
	s_wait_dscnt 0x0
	v_add_nc_u16 v0, v0, 1
	v_lshrrev_b32_e32 v6, 2, v1
	ds_store_b16 v118, v0
	ds_load_u16 v0, v122
	v_and_b32_e32 v87, 3, v6
	v_and_b32_e32 v1, 3, v1
	s_delay_alu instid0(VALU_DEP_1) | instskip(NEXT) | instid1(VALU_DEP_1)
	v_dual_lshlrev_b32 v88, 1, v1 :: v_dual_lshlrev_b32 v1, 3, v87
	v_add3_u32 v54, v60, v1, v88
	v_ashrrev_i32_e32 v1, s45, v44
	s_wait_dscnt 0x0
	v_add_nc_u16 v0, v0, 1
	s_delay_alu instid0(VALU_DEP_2) | instskip(SKIP_4) | instid1(VALU_DEP_1)
	v_lshrrev_b32_e32 v6, 2, v1
	ds_store_b16 v122, v0
	ds_load_u16 v0, v125
	v_and_b32_e32 v80, 3, v6
	v_and_b32_e32 v1, 3, v1
	v_dual_lshlrev_b32 v83, 1, v1 :: v_dual_lshlrev_b32 v1, 3, v80
	s_delay_alu instid0(VALU_DEP_1) | instskip(SKIP_1) | instid1(VALU_DEP_1)
	v_add3_u32 v51, v60, v1, v83
	v_ashrrev_i32_e32 v1, s45, v45
	v_lshrrev_b32_e32 v6, 2, v1
	s_wait_dscnt 0x0
	v_add_nc_u16 v0, v0, 1
	s_delay_alu instid0(VALU_DEP_2) | instskip(SKIP_3) | instid1(VALU_DEP_1)
	v_and_b32_e32 v85, 3, v6
	ds_store_b16 v125, v0
	ds_load_u16 v0, v74
	v_and_b32_e32 v1, 3, v1
	v_lshlrev_b32_e32 v86, 1, v1
	v_lshlrev_b32_e32 v1, 3, v85
	s_delay_alu instid0(VALU_DEP_1)
	v_add3_u32 v50, v60, v1, v86
	s_wait_dscnt 0x0
	v_add_nc_u16 v0, v0, 1
	ds_store_b16 v74, v0
	ds_load_u16 v0, v115
	s_wait_dscnt 0x0
	v_add_nc_u16 v0, v0, 1
	ds_store_b16 v115, v0
	ds_load_u16 v0, v54
	;; [unrolled: 4-line block ×4, first 2 shown]
	s_wait_dscnt 0x0
	v_add_nc_u16 v0, v0, 1
	ds_store_b16 v50, v0
	s_wait_storecnt_dscnt 0x0
	s_barrier_signal -1
	s_barrier_wait -1
	s_branch .LBB1_54
.LBB1_53:                               ;   in Loop: Header=BB1_54 Depth=2
	s_or_b32 exec_lo, exec_lo, s31
	s_add_co_i32 s30, s30, 8
	s_delay_alu instid0(SALU_CYCLE_1)
	s_cmp_eq_u32 s30, 32
	s_cbranch_scc1 .LBB1_84
.LBB1_54:                               ;   Parent Loop BB1_52 Depth=1
                                        ; =>  This Inner Loop Header: Depth=2
	v_add_nc_u32_e32 v89, s30, v60
	ds_load_b64 v[0:1], v89
	s_wait_dscnt 0x0
	ds_store_b64 v61, v[0:1]
	s_wait_dscnt 0x0
	s_barrier_signal -1
	s_barrier_wait -1
	s_wait_xcnt 0x0
	s_and_saveexec_b32 s31, s23
	s_cbranch_execz .LBB1_56
; %bb.55:                               ;   in Loop: Header=BB1_54 Depth=2
	v_add_nc_u32_e32 v6, v61, v59
	ds_load_b128 v[98:101], v6
	s_wait_dscnt 0x0
	v_add_nc_u64_e32 v[0:1], v[100:101], v[98:99]
	ds_store_b64 v6, v[0:1] offset:8
.LBB1_56:                               ;   in Loop: Header=BB1_54 Depth=2
	s_or_b32 exec_lo, exec_lo, s31
	s_wait_dscnt 0x0
	s_barrier_signal -1
	s_barrier_wait -1
	s_and_saveexec_b32 s31, s24
	s_cbranch_execz .LBB1_58
; %bb.57:                               ;   in Loop: Header=BB1_54 Depth=2
	ds_load_b64 v[0:1], v63 offset:28696
	ds_load_b64 v[6:7], v62 offset:28696
	s_wait_dscnt 0x0
	v_add_nc_u64_e32 v[0:1], v[6:7], v[0:1]
	ds_store_b64 v62, v[0:1] offset:28696
.LBB1_58:                               ;   in Loop: Header=BB1_54 Depth=2
	s_or_b32 exec_lo, exec_lo, s31
	s_wait_dscnt 0x0
	s_barrier_signal -1
	s_barrier_wait -1
	s_and_saveexec_b32 s31, s25
	s_cbranch_execz .LBB1_60
; %bb.59:                               ;   in Loop: Header=BB1_54 Depth=2
	ds_load_b64 v[0:1], v65 offset:28696
	ds_load_b64 v[6:7], v64 offset:28696
	s_wait_dscnt 0x0
	v_add_nc_u64_e32 v[0:1], v[6:7], v[0:1]
	ds_store_b64 v64, v[0:1] offset:28696
.LBB1_60:                               ;   in Loop: Header=BB1_54 Depth=2
	;; [unrolled: 13-line block ×5, first 2 shown]
	s_or_b32 exec_lo, exec_lo, s31
	s_wait_dscnt 0x0
	s_barrier_signal -1
	s_barrier_wait -1
	s_and_saveexec_b32 s31, s29
	s_cbranch_execz .LBB1_68
; %bb.67:                               ;   in Loop: Header=BB1_54 Depth=2
	v_add_nc_u32_e64 v0, 24, 0
	ds_load_2addr_stride64_b64 v[98:101], v0 offset0:57 offset1:58
	s_wait_dscnt 0x0
	v_add_nc_u64_e32 v[0:1], v[100:101], v[98:99]
	ds_store_b64 v76, v[0:1] offset:29720
.LBB1_68:                               ;   in Loop: Header=BB1_54 Depth=2
	s_or_b32 exec_lo, exec_lo, s31
	s_wait_dscnt 0x0
	s_barrier_signal -1
	s_barrier_wait -1
	s_barrier_signal -1
	s_barrier_wait -1
	s_and_saveexec_b32 s31, s29
	s_cbranch_execz .LBB1_70
; %bb.69:                               ;   in Loop: Header=BB1_54 Depth=2
	ds_load_b64 v[0:1], v76 offset:29720
	v_add_nc_u32_e64 v6, 24, 0
	s_wait_dscnt 0x0
	ds_store_b64 v76, v[0:1] offset:29728
	s_wait_dscnt 0x0
	ds_store_b64 v76, v[52:53] offset:29720
	s_wait_dscnt 0x0
	ds_load_2addr_stride64_b64 v[98:101], v6 offset0:57 offset1:58
	s_wait_dscnt 0x0
	v_add_nc_u64_e32 v[0:1], v[100:101], v[98:99]
	ds_store_2addr_stride64_b64 v6, v[100:101], v[0:1] offset0:57 offset1:58
.LBB1_70:                               ;   in Loop: Header=BB1_54 Depth=2
	s_or_b32 exec_lo, exec_lo, s31
	s_wait_dscnt 0x0
	s_barrier_signal -1
	s_barrier_wait -1
	s_and_saveexec_b32 s31, s28
	s_cbranch_execz .LBB1_72
; %bb.71:                               ;   in Loop: Header=BB1_54 Depth=2
	ds_load_b64 v[0:1], v71 offset:28696
	ds_load_b64 v[6:7], v70 offset:28696
	s_wait_dscnt 0x0
	v_add_nc_u64_e32 v[0:1], v[6:7], v[0:1]
	ds_store_b64 v71, v[6:7] offset:28696
	ds_store_b64 v70, v[0:1] offset:28696
.LBB1_72:                               ;   in Loop: Header=BB1_54 Depth=2
	s_or_b32 exec_lo, exec_lo, s31
	s_wait_dscnt 0x0
	s_barrier_signal -1
	s_barrier_wait -1
	s_and_saveexec_b32 s31, s27
	s_cbranch_execz .LBB1_74
; %bb.73:                               ;   in Loop: Header=BB1_54 Depth=2
	ds_load_b64 v[0:1], v69 offset:28696
	ds_load_b64 v[6:7], v68 offset:28696
	s_wait_dscnt 0x0
	v_add_nc_u64_e32 v[0:1], v[6:7], v[0:1]
	ds_store_b64 v69, v[6:7] offset:28696
	ds_store_b64 v68, v[0:1] offset:28696
.LBB1_74:                               ;   in Loop: Header=BB1_54 Depth=2
	;; [unrolled: 14-line block ×5, first 2 shown]
	s_or_b32 exec_lo, exec_lo, s31
	s_wait_dscnt 0x0
	s_barrier_signal -1
	s_barrier_wait -1
	s_and_saveexec_b32 s31, s23
	s_cbranch_execz .LBB1_82
; %bb.81:                               ;   in Loop: Header=BB1_54 Depth=2
	v_add_nc_u32_e32 v0, v61, v59
	ds_load_b128 v[98:101], v0
	s_wait_dscnt 0x0
	v_add_nc_u64_e32 v[8:9], v[100:101], v[98:99]
	v_dual_mov_b32 v6, v100 :: v_dual_mov_b32 v7, v101
	ds_store_b128 v0, v[6:9]
.LBB1_82:                               ;   in Loop: Header=BB1_54 Depth=2
	s_or_b32 exec_lo, exec_lo, s31
	s_wait_dscnt 0x0
	s_barrier_signal -1
	s_barrier_wait -1
	s_barrier_signal -1
	s_barrier_wait -1
	ds_load_b64 v[0:1], v76 offset:29728
	s_wait_dscnt 0x0
	s_barrier_signal -1
	s_barrier_wait -1
	ds_load_b64 v[6:7], v61
	s_wait_dscnt 0x0
	ds_store_b64 v89, v[6:7]
	s_and_saveexec_b32 s31, s29
	s_cbranch_execz .LBB1_53
; %bb.83:                               ;   in Loop: Header=BB1_54 Depth=2
	v_mov_b32_e32 v6, s30
	ds_store_b64 v6, v[0:1] offset:28672
	s_branch .LBB1_53
.LBB1_84:                               ;   in Loop: Header=BB1_52 Depth=1
	s_wait_dscnt 0x0
	s_barrier_signal -1
	s_barrier_wait -1
	s_and_saveexec_b32 s30, s26
	s_cbranch_execz .LBB1_86
; %bb.85:                               ;   in Loop: Header=BB1_52 Depth=1
	scratch_load_b32 v6, off, off offset:24 ; 4-byte Folded Reload
	s_wait_loadcnt 0x0
	ds_load_b32 v0, v6 offset:4096
	s_wait_dscnt 0x0
	v_lshrrev_b32_e32 v1, 16, v0
	s_delay_alu instid0(VALU_DEP_1)
	v_add_nc_u16 v0, v1, v0
	ds_store_b16 v6, v0 offset:4098
.LBB1_86:                               ;   in Loop: Header=BB1_52 Depth=1
	s_or_b32 exec_lo, exec_lo, s30
	s_wait_dscnt 0x0
	s_barrier_signal -1
	s_barrier_wait -1
	s_and_saveexec_b32 s30, s27
	s_cbranch_execz .LBB1_88
; %bb.87:                               ;   in Loop: Header=BB1_52 Depth=1
	s_clause 0x1
	scratch_load_b32 v0, off, off offset:8
	scratch_load_b32 v6, off, off offset:12
	s_wait_loadcnt 0x1
	ds_load_u16 v0, v0 offset:28670
	s_wait_loadcnt 0x0
	ds_load_u16 v1, v6 offset:28670
	s_wait_dscnt 0x0
	v_add_nc_u16 v0, v1, v0
	ds_store_b16 v6, v0 offset:28670
.LBB1_88:                               ;   in Loop: Header=BB1_52 Depth=1
	s_or_b32 exec_lo, exec_lo, s30
	s_wait_dscnt 0x0
	s_barrier_signal -1
	s_barrier_wait -1
	s_and_saveexec_b32 s30, s28
	s_cbranch_execz .LBB1_90
; %bb.89:                               ;   in Loop: Header=BB1_52 Depth=1
	s_clause 0x1
	scratch_load_b32 v0, off, off offset:16
	scratch_load_b32 v6, off, off offset:20
	s_wait_loadcnt 0x1
	ds_load_u16 v0, v0 offset:28670
	s_wait_loadcnt 0x0
	ds_load_u16 v1, v6 offset:28670
	s_wait_dscnt 0x0
	v_add_nc_u16 v0, v1, v0
	ds_store_b16 v6, v0 offset:28670
.LBB1_90:                               ;   in Loop: Header=BB1_52 Depth=1
	s_or_b32 exec_lo, exec_lo, s30
	s_wait_dscnt 0x0
	s_barrier_signal -1
	s_barrier_wait -1
	s_and_saveexec_b32 s30, s29
	s_cbranch_execz .LBB1_92
; %bb.91:                               ;   in Loop: Header=BB1_52 Depth=1
	ds_load_u16 v0, v76 offset:28686
	ds_load_u16 v1, v76 offset:28702
	s_wait_dscnt 0x0
	v_add_nc_u32_e32 v0, v1, v0
	ds_store_b16 v76, v0 offset:28702
.LBB1_92:                               ;   in Loop: Header=BB1_52 Depth=1
	s_or_b32 exec_lo, exec_lo, s30
	s_wait_dscnt 0x0
	s_barrier_signal -1
	s_barrier_wait -1
	s_barrier_signal -1
	s_barrier_wait -1
	s_and_saveexec_b32 s30, s29
	s_cbranch_execz .LBB1_94
; %bb.93:                               ;   in Loop: Header=BB1_52 Depth=1
	ds_load_u16 v0, v76 offset:28702
	s_wait_dscnt 0x0
	ds_store_b16 v76, v0 offset:29736
	s_wait_dscnt 0x0
	ds_store_b16 v76, v76 offset:28702
	s_wait_dscnt 0x0
	ds_load_u16 v0, v76 offset:28686
	ds_load_u16 v1, v76 offset:28702
	s_wait_dscnt 0x0
	v_add_nc_u32_e32 v0, v1, v0
	ds_store_b16 v76, v1 offset:28686
	ds_store_b16 v76, v0 offset:28702
.LBB1_94:                               ;   in Loop: Header=BB1_52 Depth=1
	s_or_b32 exec_lo, exec_lo, s30
	s_wait_dscnt 0x0
	s_barrier_signal -1
	s_barrier_wait -1
	s_and_saveexec_b32 s30, s28
	s_cbranch_execz .LBB1_96
; %bb.95:                               ;   in Loop: Header=BB1_52 Depth=1
	s_clause 0x1
	scratch_load_b32 v6, off, off offset:16
	scratch_load_b32 v7, off, off offset:20
	s_wait_loadcnt 0x1
	ds_load_u16 v0, v6 offset:28670
	s_wait_loadcnt 0x0
	ds_load_u16 v1, v7 offset:28670
	s_wait_dscnt 0x0
	v_add_nc_u16 v0, v1, v0
	ds_store_b16 v6, v1 offset:28670
	ds_store_b16 v7, v0 offset:28670
.LBB1_96:                               ;   in Loop: Header=BB1_52 Depth=1
	s_or_b32 exec_lo, exec_lo, s30
	s_wait_dscnt 0x0
	s_barrier_signal -1
	s_barrier_wait -1
	s_and_saveexec_b32 s30, s27
	s_cbranch_execz .LBB1_98
; %bb.97:                               ;   in Loop: Header=BB1_52 Depth=1
	s_clause 0x1
	scratch_load_b32 v6, off, off offset:8
	scratch_load_b32 v7, off, off offset:12
	s_wait_loadcnt 0x1
	ds_load_u16 v0, v6 offset:28670
	s_wait_loadcnt 0x0
	ds_load_u16 v1, v7 offset:28670
	s_wait_dscnt 0x0
	v_add_nc_u16 v0, v1, v0
	ds_store_b16 v6, v1 offset:28670
	ds_store_b16 v7, v0 offset:28670
.LBB1_98:                               ;   in Loop: Header=BB1_52 Depth=1
	s_or_b32 exec_lo, exec_lo, s30
	s_wait_dscnt 0x0
	s_barrier_signal -1
	s_barrier_wait -1
	s_and_saveexec_b32 s30, s26
	s_cbranch_execz .LBB1_100
; %bb.99:                               ;   in Loop: Header=BB1_52 Depth=1
	scratch_load_b32 v6, off, off offset:24 ; 4-byte Folded Reload
	s_wait_loadcnt 0x0
	ds_load_b32 v0, v6 offset:4096
	s_wait_dscnt 0x0
	v_lshrrev_b32_e32 v1, 16, v0
	s_delay_alu instid0(VALU_DEP_1) | instskip(NEXT) | instid1(VALU_DEP_1)
	v_add_nc_u16 v1, v1, v0
	v_alignbit_b32 v0, v1, v0, 16
	ds_store_b32 v6, v0 offset:4096
.LBB1_100:                              ;   in Loop: Header=BB1_52 Depth=1
	s_or_b32 exec_lo, exec_lo, s30
	v_lshl_or_b32 v0, v116, 3, v119
	s_wait_dscnt 0x0
	s_barrier_signal -1
	s_barrier_wait -1
	s_barrier_signal -1
	s_barrier_wait -1
	;; [unrolled: 2-line block ×3, first 2 shown]
	ds_load_u16 v89, v0 offset:28672
	ds_load_u16 v116, v77
	v_lshl_or_b32 v94, v96, 3, v94
	v_lshl_or_b32 v91, v91, 3, v102
	;; [unrolled: 1-line block ×9, first 2 shown]
	s_add_co_i32 s33, s45, 4
	s_mov_b32 s30, 0
	s_delay_alu instid0(SALU_CYCLE_1)
	s_mov_b32 s31, s30
	s_mov_b32 s34, s30
	;; [unrolled: 1-line block ×3, first 2 shown]
	s_wait_dscnt 0x0
	v_add_nc_u16 v0, v116, 1
	ds_store_b16 v77, v0
	scratch_load_b32 v0, off, off offset:92 th:TH_LOAD_LU ; 4-byte Folded Reload
	s_wait_loadcnt 0x0
	v_lshl_or_b32 v0, v0, 3, v90
	ds_load_u16 v0, v0 offset:28672
	ds_load_u16 v6, v72
	s_wait_dscnt 0x0
	v_add_nc_u16 v1, v6, 1
	v_and_b32_e32 v6, 0xffff, v6
	ds_store_b16 v72, v1
	scratch_load_b32 v1, off, off offset:100 th:TH_LOAD_LU ; 4-byte Folded Reload
	v_add_lshl_u32 v0, v6, v0, 2
	s_wait_loadcnt 0x0
	v_lshl_or_b32 v1, v1, 3, v92
	ds_load_u16 v1, v1 offset:28672
	ds_load_u16 v77, v75
	s_wait_dscnt 0x0
	v_add_nc_u16 v7, v77, 1
	ds_store_b16 v75, v7
	s_clause 0x1
	scratch_load_b32 v7, off, off offset:72 th:TH_LOAD_LU
	scratch_load_b32 v8, off, off offset:96 th:TH_LOAD_LU
	s_wait_loadcnt 0x0
	v_lshl_or_b32 v7, v7, 3, v8
	ds_load_u16 v72, v7 offset:28672
	ds_load_u16 v75, v56
	s_wait_dscnt 0x0
	v_add_nc_u16 v7, v75, 1
	v_and_b32_e32 v6, 0xffff, v75
	ds_store_b16 v56, v7
	scratch_load_b32 v7, off, off offset:84 th:TH_LOAD_LU ; 4-byte Folded Reload
	s_wait_loadcnt 0x0
	v_lshl_or_b32 v7, v7, 3, v95
	ds_load_u16 v56, v7 offset:28672
	ds_load_u16 v7, v57
	s_wait_dscnt 0x0
	v_add_nc_u16 v8, v7, 1
	v_and_b32_e32 v7, 0xffff, v7
	ds_store_b16 v57, v8
	s_clause 0x1
	scratch_load_b32 v8, off, off offset:56 th:TH_LOAD_LU
	scratch_load_b32 v9, off, off offset:76 th:TH_LOAD_LU
	s_wait_loadcnt 0x0
	v_lshl_or_b32 v8, v8, 3, v9
	ds_load_u16 v57, v8 offset:28672
	ds_load_u16 v8, v55
	s_wait_dscnt 0x0
	v_add_nc_u16 v9, v8, 1
	v_and_b32_e32 v8, 0xffff, v8
	ds_store_b16 v55, v9
	s_clause 0x1
	scratch_load_b32 v9, off, off offset:64 th:TH_LOAD_LU
	scratch_load_b32 v55, off, off offset:88 th:TH_LOAD_LU
	s_wait_loadcnt 0x0
	v_lshl_or_b32 v9, v9, 3, v55
	ds_load_u16 v90, v58
	ds_load_u16 v9, v9 offset:28672
	s_wait_dscnt 0x1
	v_add_nc_u16 v55, v90, 1
	ds_store_b16 v58, v55
	ds_load_u16 v58, v73
	s_clause 0x1
	scratch_load_b32 v55, off, off offset:44 th:TH_LOAD_LU
	scratch_load_b32 v92, off, off offset:48 th:TH_LOAD_LU
	s_wait_loadcnt 0x0
	v_lshl_or_b32 v55, v55, 3, v92
	s_wait_dscnt 0x0
	v_add_nc_u16 v92, v58, 1
	ds_load_u16 v55, v55 offset:28672
	ds_store_b16 v73, v92
	ds_load_u16 v73, v79
	s_clause 0x1
	scratch_load_b32 v92, off, off offset:52 th:TH_LOAD_LU
	scratch_load_b32 v95, off, off offset:68 th:TH_LOAD_LU
	s_wait_loadcnt 0x0
	v_lshl_or_b32 v92, v92, 3, v95
	s_wait_dscnt 0x0
	v_add_nc_u16 v95, v73, 1
	ds_load_u16 v92, v92 offset:28672
	;; [unrolled: 10-line block ×3, first 2 shown]
	ds_store_b16 v81, v98
	ds_load_u16 v81, v93
	ds_load_u16 v94, v94 offset:28672
	s_wait_dscnt 0x1
	v_add_nc_u16 v96, v81, 1
	ds_store_b16 v93, v96
	ds_load_u16 v93, v97
	ds_load_u16 v91, v91 offset:28672
	s_wait_dscnt 0x1
	v_add_nc_u16 v96, v93, 1
	ds_store_b16 v97, v96
	ds_load_u16 v96, v103
	v_lshl_or_b32 v97, v104, 3, v107
	v_lshl_or_b32 v107, v121, 3, v123
	ds_load_u16 v97, v97 offset:28672
	s_wait_dscnt 0x1
	v_add_nc_u16 v98, v96, 1
	ds_store_b16 v103, v98
	ds_load_u16 v98, v105
	ds_load_u16 v99, v99 offset:28672
	v_lshl_or_b32 v103, v112, 3, v114
	s_wait_dscnt 0x1
	v_add_nc_u16 v100, v98, 1
	ds_store_b16 v105, v100
	ds_load_u16 v100, v109
	ds_load_u16 v101, v101 offset:28672
	v_lshl_or_b32 v105, v117, 3, v120
	;; [unrolled: 6-line block ×3, first 2 shown]
	s_wait_dscnt 0x1
	v_add_nc_u16 v104, v102, 1
	ds_store_b16 v113, v104
	ds_load_u16 v104, v118
	ds_load_u16 v105, v105 offset:28672
	s_wait_dscnt 0x1
	v_add_nc_u16 v106, v104, 1
	ds_store_b16 v118, v106
	ds_load_u16 v106, v122
	ds_load_u16 v107, v107 offset:28672
	;; [unrolled: 5-line block ×5, first 2 shown]
	v_and_b32_e32 v111, 0xffff, v116
	s_delay_alu instid0(VALU_DEP_1)
	v_add_lshl_u32 v88, v111, v89, 2
	s_wait_dscnt 0x1
	v_add_nc_u16 v84, v74, 1
	ds_store_b16 v115, v84
	scratch_load_b128 v[112:115], off, off offset:28 th:TH_LOAD_LU ; 16-byte Folded Reload
	ds_load_u16 v84, v54
	s_wait_loadcnt 0x0
	ds_store_2addr_stride64_b32 v88, v2, v112 offset1:48
	v_and_b32_e32 v2, 0xffff, v77
	ds_store_2addr_stride64_b32 v0, v3, v113 offset1:48
	v_add_lshl_u32 v3, v8, v57, 2
	v_add_lshl_u32 v0, v2, v1, 2
	;; [unrolled: 1-line block ×4, first 2 shown]
	ds_store_2addr_stride64_b32 v0, v4, v114 offset1:48
	ds_store_2addr_stride64_b32 v1, v5, v115 offset1:48
	;; [unrolled: 1-line block ×4, first 2 shown]
	s_wait_dscnt 0x6
	v_add_nc_u16 v1, v84, 1
	v_and_b32_e32 v6, 0xffff, v90
	ds_load_u16 v5, v87 offset:28672
	v_and_b32_e32 v2, 0xffff, v58
	v_and_b32_e32 v3, 0xffff, v73
	ds_store_b16 v54, v1
	ds_load_u16 v1, v51
	v_and_b32_e32 v4, 0xffff, v79
	v_add_lshl_u32 v0, v6, v9, 2
	v_add_lshl_u32 v2, v2, v55, 2
	;; [unrolled: 1-line block ×3, first 2 shown]
	v_and_b32_e32 v6, 0xffff, v100
	v_add_lshl_u32 v4, v4, v95, 2
	ds_store_2addr_stride64_b32 v0, v12, v16 offset1:48
	v_and_b32_e32 v0, 0xffff, v81
	ds_store_2addr_stride64_b32 v2, v13, v17 offset1:48
	ds_store_2addr_stride64_b32 v3, v18, v22 offset1:48
	;; [unrolled: 1-line block ×3, first 2 shown]
	v_and_b32_e32 v2, 0xffff, v93
	v_and_b32_e32 v3, 0xffff, v96
	;; [unrolled: 1-line block ×3, first 2 shown]
	v_add_lshl_u32 v0, v0, v94, 2
	v_and_b32_e32 v7, 0xffff, v108
	v_add_lshl_u32 v2, v2, v91, 2
	v_and_b32_e32 v9, 0xffff, v110
	ds_store_2addr_stride64_b32 v0, v20, v24 offset1:48
	v_add_lshl_u32 v0, v3, v97, 2
	v_add_lshl_u32 v3, v4, v99, 2
	ds_store_2addr_stride64_b32 v2, v21, v25 offset1:48
	s_wait_dscnt 0x6
	v_add_nc_u16 v2, v1, 1
	v_add_lshl_u32 v4, v6, v101, 2
	ds_store_2addr_stride64_b32 v0, v26, v30 offset1:48
	ds_store_2addr_stride64_b32 v3, v27, v31 offset1:48
	;; [unrolled: 1-line block ×3, first 2 shown]
	ds_load_u16 v0, v80 offset:28672
	ds_store_b16 v51, v2
	ds_load_u16 v2, v50
	ds_load_u16 v8, v83 offset:28672
	v_and_b32_e32 v3, 0xffff, v102
	v_and_b32_e32 v4, 0xffff, v104
	;; [unrolled: 1-line block ×3, first 2 shown]
	v_add_lshl_u32 v7, v7, v109, 2
	v_and_b32_e32 v1, 0xffff, v1
	v_add_lshl_u32 v3, v3, v103, 2
	v_add_lshl_u32 v4, v4, v105, 2
	;; [unrolled: 1-line block ×3, first 2 shown]
	ds_store_2addr_stride64_b32 v3, v29, v33 offset1:48
	ds_store_2addr_stride64_b32 v4, v34, v38 offset1:48
	;; [unrolled: 1-line block ×3, first 2 shown]
	v_add_lshl_u32 v3, v9, v78, 2
	v_and_b32_e32 v4, 0xffff, v74
	v_and_b32_e32 v6, 0xffff, v84
	ds_store_2addr_stride64_b32 v7, v36, v40 offset1:48
	ds_store_2addr_stride64_b32 v3, v37, v41 offset1:48
	v_add_lshl_u32 v4, v4, v82, 2
	s_wait_dscnt 0x6
	v_and_b32_e32 v3, 0xffff, v2
	v_add_lshl_u32 v5, v6, v5, 2
	v_add_lshl_u32 v0, v1, v0, 2
	v_add_nc_u16 v1, v2, 1
	s_wait_dscnt 0x5
	v_add_lshl_u32 v2, v3, v8, 2
	ds_store_2addr_stride64_b32 v4, v42, v46 offset1:48
	ds_store_2addr_stride64_b32 v5, v43, v47 offset1:48
	;; [unrolled: 1-line block ×3, first 2 shown]
	ds_store_b16 v50, v1
	ds_store_2addr_stride64_b32 v2, v45, v49 offset1:48
	s_wait_dscnt 0x0
	s_barrier_signal -1
	s_barrier_wait -1
	scratch_load_b32 v7, off, off offset:4  ; 4-byte Folded Reload
	v_mov_b64_e32 v[2:3], s[34:35]
	s_wait_loadcnt 0x0
	ds_load_b128 v[12:15], v7
	s_wait_dscnt 0x0
	v_ashrrev_i32_e32 v0, s33, v12
	s_delay_alu instid0(VALU_DEP_1) | instskip(NEXT) | instid1(VALU_DEP_1)
	v_lshrrev_b32_e32 v1, 2, v0
	v_and_b32_e32 v1, 3, v1
	s_delay_alu instid0(VALU_DEP_1) | instskip(NEXT) | instid1(VALU_DEP_1)
	v_dual_lshlrev_b32 v4, 3, v1 :: v_dual_bitop2_b32 v0, 3, v0 bitop3:0x40
	v_lshlrev_b32_e32 v5, 1, v0
	scratch_store_b32 off, v1, off offset:100 ; 4-byte Folded Spill
	s_wait_xcnt 0x0
	v_mov_b64_e32 v[0:1], s[30:31]
	v_add3_u32 v89, v60, v4, v5
	scratch_store_b32 off, v5, off offset:112 ; 4-byte Folded Spill
	ds_store_2addr_b64 v60, v[0:1], v[2:3] offset1:1
	ds_store_2addr_b64 v60, v[0:1], v[2:3] offset0:2 offset1:3
	ds_load_u16 v0, v89
	v_ashrrev_i32_e32 v1, s33, v13
	ds_load_b128 v[20:23], v7 offset:48
	ds_load_b128 v[8:11], v7 offset:64
	;; [unrolled: 1-line block ×4, first 2 shown]
	v_lshrrev_b32_e32 v2, 2, v1
	s_delay_alu instid0(VALU_DEP_1) | instskip(SKIP_1) | instid1(VALU_DEP_1)
	v_and_b32_e32 v2, 3, v2
	v_and_b32_e32 v1, 3, v1
	v_dual_lshlrev_b32 v3, 1, v1 :: v_dual_lshlrev_b32 v1, 3, v2
	scratch_store_b32 off, v2, off offset:64 ; 4-byte Folded Spill
	s_wait_dscnt 0x4
	v_add_nc_u16 v0, v0, 1
	scratch_store_b32 off, v3, off offset:68 ; 4-byte Folded Spill
	v_add3_u32 v82, v60, v1, v3
	s_wait_dscnt 0x2
	s_wait_xcnt 0x2
	v_dual_ashrrev_i32 v1, s33, v14 :: v_dual_ashrrev_i32 v5, s33, v11
	ds_store_b16 v89, v0
	ds_load_u16 v0, v82
	s_wait_xcnt 0x1
	v_dual_lshrrev_b32 v2, 2, v1 :: v_dual_bitop2_b32 v1, 3, v1 bitop3:0x40
	v_dual_lshrrev_b32 v6, 2, v5 :: v_dual_bitop2_b32 v5, 3, v5 bitop3:0x40
	s_wait_xcnt 0x0
	s_delay_alu instid0(VALU_DEP_2) | instskip(NEXT) | instid1(VALU_DEP_2)
	v_dual_lshlrev_b32 v3, 1, v1 :: v_dual_bitop2_b32 v2, 3, v2 bitop3:0x40
	v_dual_lshlrev_b32 v90, 1, v5 :: v_dual_bitop2_b32 v86, 3, v6 bitop3:0x40
	s_delay_alu instid0(VALU_DEP_2) | instskip(SKIP_4) | instid1(VALU_DEP_3)
	v_lshlrev_b32_e32 v1, 3, v2
	scratch_store_b32 off, v2, off offset:28 ; 4-byte Folded Spill
	v_lshlrev_b32_e32 v5, 3, v86
	v_add3_u32 v79, v60, v1, v3
	v_ashrrev_i32_e32 v1, s33, v15
	v_add3_u32 v50, v60, v5, v90
	s_wait_dscnt 0x0
	v_add_nc_u16 v0, v0, 1
	s_wait_xcnt 0x0
	v_dual_lshrrev_b32 v2, 2, v1 :: v_dual_bitop2_b32 v1, 3, v1 bitop3:0x40
	ds_store_b16 v82, v0
	ds_load_u16 v0, v79
	v_dual_lshlrev_b32 v93, 1, v1 :: v_dual_bitop2_b32 v92, 3, v2 bitop3:0x40
	s_delay_alu instid0(VALU_DEP_1) | instskip(NEXT) | instid1(VALU_DEP_1)
	v_lshlrev_b32_e32 v1, 3, v92
	v_add3_u32 v77, v60, v1, v93
	v_ashrrev_i32_e32 v1, s33, v24
	s_delay_alu instid0(VALU_DEP_1) | instskip(SKIP_2) | instid1(VALU_DEP_2)
	v_dual_lshrrev_b32 v2, 2, v1 :: v_dual_bitop2_b32 v1, 3, v1 bitop3:0x40
	s_wait_dscnt 0x0
	v_add_nc_u16 v0, v0, 1
	v_dual_lshlrev_b32 v91, 1, v1 :: v_dual_bitop2_b32 v87, 3, v2 bitop3:0x40
	ds_store_b16 v79, v0
	ds_load_u16 v0, v77
	v_lshlrev_b32_e32 v1, 3, v87
	s_delay_alu instid0(VALU_DEP_1) | instskip(SKIP_1) | instid1(VALU_DEP_1)
	v_add3_u32 v74, v60, v1, v91
	v_ashrrev_i32_e32 v1, s33, v25
	v_dual_lshrrev_b32 v2, 2, v1 :: v_dual_bitop2_b32 v1, 3, v1 bitop3:0x40
	s_delay_alu instid0(VALU_DEP_1) | instskip(SKIP_2) | instid1(VALU_DEP_2)
	v_dual_lshlrev_b32 v58, 1, v1 :: v_dual_bitop2_b32 v73, 3, v2 bitop3:0x40
	s_wait_dscnt 0x0
	v_add_nc_u16 v0, v0, 1
	v_lshlrev_b32_e32 v1, 3, v73
	ds_store_b16 v77, v0
	ds_load_u16 v0, v74
	v_add3_u32 v122, v60, v1, v58
	v_ashrrev_i32_e32 v1, s33, v26
	s_delay_alu instid0(VALU_DEP_1) | instskip(NEXT) | instid1(VALU_DEP_1)
	v_dual_lshrrev_b32 v2, 2, v1 :: v_dual_bitop2_b32 v1, 3, v1 bitop3:0x40
	v_dual_lshlrev_b32 v54, 1, v1 :: v_dual_bitop2_b32 v51, 3, v2 bitop3:0x40
	s_delay_alu instid0(VALU_DEP_1) | instskip(SKIP_2) | instid1(VALU_DEP_2)
	v_lshlrev_b32_e32 v1, 3, v51
	s_wait_dscnt 0x0
	v_add_nc_u16 v0, v0, 1
	v_add3_u32 v115, v60, v1, v54
	v_ashrrev_i32_e32 v1, s33, v27
	ds_store_b16 v74, v0
	ds_load_u16 v0, v122
	v_dual_lshrrev_b32 v2, 2, v1 :: v_dual_bitop2_b32 v1, 3, v1 bitop3:0x40
	s_delay_alu instid0(VALU_DEP_1) | instskip(NEXT) | instid1(VALU_DEP_1)
	v_dual_lshlrev_b32 v125, 1, v1 :: v_dual_bitop2_b32 v124, 3, v2 bitop3:0x40
	v_lshlrev_b32_e32 v1, 3, v124
	s_delay_alu instid0(VALU_DEP_1) | instskip(SKIP_3) | instid1(VALU_DEP_2)
	v_add3_u32 v110, v60, v1, v125
	v_ashrrev_i32_e32 v1, s33, v16
	s_wait_dscnt 0x0
	v_add_nc_u16 v0, v0, 1
	v_dual_lshrrev_b32 v2, 2, v1 :: v_dual_bitop2_b32 v1, 3, v1 bitop3:0x40
	ds_store_b16 v122, v0
	ds_load_u16 v0, v115
	v_dual_lshlrev_b32 v114, 1, v1 :: v_dual_bitop2_b32 v113, 3, v2 bitop3:0x40
	s_delay_alu instid0(VALU_DEP_1) | instskip(NEXT) | instid1(VALU_DEP_1)
	v_lshlrev_b32_e32 v1, 3, v113
	v_add3_u32 v99, v60, v1, v114
	v_ashrrev_i32_e32 v1, s33, v17
	s_delay_alu instid0(VALU_DEP_1) | instskip(SKIP_2) | instid1(VALU_DEP_2)
	v_dual_lshrrev_b32 v2, 2, v1 :: v_dual_bitop2_b32 v1, 3, v1 bitop3:0x40
	s_wait_dscnt 0x0
	v_add_nc_u16 v0, v0, 1
	v_and_b32_e32 v2, 3, v2
	scratch_store_b32 off, v3, off offset:44 ; 4-byte Folded Spill
	ds_store_b16 v115, v0
	ds_load_u16 v0, v110
	s_wait_xcnt 0x0
	v_dual_lshlrev_b32 v3, 1, v1 :: v_dual_lshlrev_b32 v1, 3, v2
	s_clause 0x1
	scratch_store_b32 off, v2, off offset:88
	scratch_store_b32 off, v3, off offset:92
	v_add3_u32 v88, v60, v1, v3
	v_ashrrev_i32_e32 v1, s33, v18
	s_wait_xcnt 0x1
	s_delay_alu instid0(VALU_DEP_1) | instskip(SKIP_1) | instid1(VALU_DEP_1)
	v_dual_lshrrev_b32 v2, 2, v1 :: v_dual_bitop2_b32 v1, 3, v1 bitop3:0x40
	s_wait_xcnt 0x0
	v_dual_lshlrev_b32 v3, 1, v1 :: v_dual_bitop2_b32 v2, 3, v2 bitop3:0x40
	s_wait_dscnt 0x0
	v_add_nc_u16 v0, v0, 1
	s_delay_alu instid0(VALU_DEP_2)
	v_lshlrev_b32_e32 v1, 3, v2
	scratch_store_b32 off, v2, off offset:56 ; 4-byte Folded Spill
	ds_store_b16 v110, v0
	ds_load_u16 v0, v99
	v_add3_u32 v81, v60, v1, v3
	v_ashrrev_i32_e32 v1, s33, v19
	s_wait_xcnt 0x0
	s_delay_alu instid0(VALU_DEP_1) | instskip(NEXT) | instid1(VALU_DEP_1)
	v_dual_lshrrev_b32 v2, 2, v1 :: v_dual_bitop2_b32 v1, 3, v1 bitop3:0x40
	v_dual_lshlrev_b32 v96, 1, v1 :: v_dual_bitop2_b32 v95, 3, v2 bitop3:0x40
	s_delay_alu instid0(VALU_DEP_1) | instskip(SKIP_2) | instid1(VALU_DEP_2)
	v_lshlrev_b32_e32 v1, 3, v95
	s_wait_dscnt 0x0
	v_add_nc_u16 v0, v0, 1
	v_add3_u32 v56, v60, v1, v96
	v_ashrrev_i32_e32 v1, s33, v20
	ds_store_b16 v99, v0
	ds_load_u16 v0, v88
	v_dual_lshrrev_b32 v2, 2, v1 :: v_dual_bitop2_b32 v1, 3, v1 bitop3:0x40
	s_delay_alu instid0(VALU_DEP_1) | instskip(NEXT) | instid1(VALU_DEP_1)
	v_dual_lshlrev_b32 v84, 1, v1 :: v_dual_bitop2_b32 v83, 3, v2 bitop3:0x40
	v_lshlrev_b32_e32 v1, 3, v83
	s_delay_alu instid0(VALU_DEP_1) | instskip(SKIP_3) | instid1(VALU_DEP_2)
	v_add3_u32 v127, v60, v1, v84
	v_ashrrev_i32_e32 v1, s33, v21
	s_wait_dscnt 0x0
	v_add_nc_u16 v0, v0, 1
	v_dual_lshrrev_b32 v2, 2, v1 :: v_dual_bitop2_b32 v1, 3, v1 bitop3:0x40
	ds_store_b16 v88, v0
	ds_load_u16 v0, v81
	v_dual_lshlrev_b32 v72, 1, v1 :: v_dual_bitop2_b32 v55, 3, v2 bitop3:0x40
	s_delay_alu instid0(VALU_DEP_1) | instskip(NEXT) | instid1(VALU_DEP_1)
	v_lshlrev_b32_e32 v1, 3, v55
	v_add3_u32 v117, v60, v1, v72
	v_ashrrev_i32_e32 v1, s33, v22
	s_delay_alu instid0(VALU_DEP_1) | instskip(SKIP_2) | instid1(VALU_DEP_2)
	v_dual_lshrrev_b32 v2, 2, v1 :: v_dual_bitop2_b32 v1, 3, v1 bitop3:0x40
	s_wait_dscnt 0x0
	v_add_nc_u16 v0, v0, 1
	v_dual_lshlrev_b32 v126, 1, v1 :: v_dual_bitop2_b32 v101, 3, v2 bitop3:0x40
	ds_store_b16 v81, v0
	ds_load_u16 v0, v56
	v_lshlrev_b32_e32 v1, 3, v101
	s_delay_alu instid0(VALU_DEP_1) | instskip(SKIP_1) | instid1(VALU_DEP_1)
	v_add3_u32 v111, v60, v1, v126
	v_ashrrev_i32_e32 v1, s33, v23
	v_dual_lshrrev_b32 v2, 2, v1 :: v_dual_bitop2_b32 v1, 3, v1 bitop3:0x40
	s_delay_alu instid0(VALU_DEP_1) | instskip(SKIP_2) | instid1(VALU_DEP_2)
	v_dual_lshlrev_b32 v98, 1, v1 :: v_dual_bitop2_b32 v105, 3, v2 bitop3:0x40
	s_wait_dscnt 0x0
	v_add_nc_u16 v0, v0, 1
	v_lshlrev_b32_e32 v1, 3, v105
	ds_store_b16 v56, v0
	ds_load_u16 v0, v127
	v_add3_u32 v103, v60, v1, v98
	v_ashrrev_i32_e32 v1, s33, v8
	s_delay_alu instid0(VALU_DEP_1) | instskip(NEXT) | instid1(VALU_DEP_1)
	v_dual_lshrrev_b32 v2, 2, v1 :: v_dual_bitop2_b32 v1, 3, v1 bitop3:0x40
	v_dual_lshlrev_b32 v102, 1, v1 :: v_dual_bitop2_b32 v2, 3, v2 bitop3:0x40
	s_delay_alu instid0(VALU_DEP_1)
	v_lshlrev_b32_e32 v1, 3, v2
	scratch_store_b32 off, v2, off offset:108 ; 4-byte Folded Spill
	s_wait_dscnt 0x0
	v_add_nc_u16 v0, v0, 1
	v_add3_u32 v94, v60, v1, v102
	v_ashrrev_i32_e32 v1, s33, v9
	ds_store_b16 v127, v0
	ds_load_u16 v0, v117
	s_wait_xcnt 0x0
	v_lshrrev_b32_e32 v2, 2, v1
	s_delay_alu instid0(VALU_DEP_1)
	v_and_b32_e32 v2, 3, v2
	v_and_b32_e32 v1, 3, v1
	scratch_store_b32 off, v3, off offset:60 ; 4-byte Folded Spill
	s_wait_xcnt 0x0
	v_dual_lshlrev_b32 v3, 1, v1 :: v_dual_lshlrev_b32 v1, 3, v2
	s_clause 0x1
	scratch_store_b32 off, v2, off offset:72
	scratch_store_b32 off, v3, off offset:80
	s_wait_dscnt 0x0
	v_add_nc_u16 v0, v0, 1
	v_add3_u32 v85, v60, v1, v3
	v_ashrrev_i32_e32 v1, s33, v10
	ds_store_b16 v117, v0
	ds_load_u16 v0, v111
	s_wait_xcnt 0x1
	v_dual_lshrrev_b32 v2, 2, v1 :: v_dual_bitop2_b32 v1, 3, v1 bitop3:0x40
	s_wait_xcnt 0x0
	s_delay_alu instid0(VALU_DEP_1) | instskip(NEXT) | instid1(VALU_DEP_1)
	v_dual_lshlrev_b32 v3, 1, v1 :: v_dual_bitop2_b32 v2, 3, v2 bitop3:0x40
	v_lshlrev_b32_e32 v1, 3, v2
	s_clause 0x1
	scratch_store_b32 off, v2, off offset:48
	scratch_store_b32 off, v3, off offset:52
	v_add3_u32 v80, v60, v1, v3
	s_wait_dscnt 0x0
	v_add_nc_u16 v0, v0, 1
	ds_store_b16 v111, v0
	ds_load_u16 v0, v103
	s_wait_dscnt 0x0
	v_add_nc_u16 v0, v0, 1
	ds_store_b16 v103, v0
	ds_load_u16 v0, v94
	s_wait_dscnt 0x0
	v_add_nc_u16 v0, v0, 1
	ds_store_b16 v94, v0
	ds_load_u16 v0, v85
	s_wait_dscnt 0x0
	v_add_nc_u16 v0, v0, 1
	ds_store_b16 v85, v0
	ds_load_u16 v4, v80
	s_wait_xcnt 0x0
	ds_load_b128 v[0:3], v7 offset:80
	s_wait_dscnt 0x1
	v_add_nc_u16 v4, v4, 1
	ds_store_b16 v80, v4
	ds_load_u16 v4, v50
	s_wait_dscnt 0x2
	v_ashrrev_i32_e32 v5, s33, v0
	s_delay_alu instid0(VALU_DEP_1) | instskip(NEXT) | instid1(VALU_DEP_1)
	v_dual_lshrrev_b32 v6, 2, v5 :: v_dual_bitop2_b32 v5, 3, v5 bitop3:0x40
	v_dual_lshlrev_b32 v57, 1, v5 :: v_dual_bitop2_b32 v75, 3, v6 bitop3:0x40
	s_delay_alu instid0(VALU_DEP_1) | instskip(SKIP_2) | instid1(VALU_DEP_2)
	v_lshlrev_b32_e32 v5, 3, v75
	s_wait_dscnt 0x0
	v_add_nc_u16 v4, v4, 1
	v_add3_u32 v123, v60, v5, v57
	v_ashrrev_i32_e32 v5, s33, v1
	ds_store_b16 v50, v4
	ds_load_u16 v4, v123
	v_dual_lshrrev_b32 v6, 2, v5 :: v_dual_bitop2_b32 v5, 3, v5 bitop3:0x40
	s_delay_alu instid0(VALU_DEP_1) | instskip(NEXT) | instid1(VALU_DEP_1)
	v_dual_lshlrev_b32 v100, 1, v5 :: v_dual_bitop2_b32 v116, 3, v6 bitop3:0x40
	v_lshlrev_b32_e32 v5, 3, v116
	s_delay_alu instid0(VALU_DEP_1) | instskip(SKIP_3) | instid1(VALU_DEP_2)
	v_add3_u32 v112, v60, v5, v100
	v_ashrrev_i32_e32 v5, s33, v2
	s_wait_dscnt 0x0
	v_add_nc_u16 v4, v4, 1
	v_dual_lshrrev_b32 v6, 2, v5 :: v_dual_bitop2_b32 v5, 3, v5 bitop3:0x40
	ds_store_b16 v123, v4
	ds_load_u16 v4, v112
	v_dual_lshlrev_b32 v7, 1, v5 :: v_dual_bitop2_b32 v6, 3, v6 bitop3:0x40
	s_delay_alu instid0(VALU_DEP_1)
	v_lshlrev_b32_e32 v5, 3, v6
	s_clause 0x1
	scratch_store_b32 off, v6, off offset:96
	scratch_store_b32 off, v7, off offset:104
	v_add3_u32 v104, v60, v5, v7
	v_ashrrev_i32_e32 v5, s33, v3
	s_wait_xcnt 0x1
	s_delay_alu instid0(VALU_DEP_1) | instskip(SKIP_3) | instid1(VALU_DEP_2)
	v_dual_lshrrev_b32 v6, 2, v5 :: v_dual_bitop2_b32 v5, 3, v5 bitop3:0x40
	s_wait_dscnt 0x0
	v_add_nc_u16 v4, v4, 1
	s_wait_xcnt 0x0
	v_dual_lshlrev_b32 v7, 1, v5 :: v_dual_bitop2_b32 v6, 3, v6 bitop3:0x40
	ds_store_b16 v112, v4
	ds_load_u16 v4, v104
	v_lshlrev_b32_e32 v5, 3, v6
	s_clause 0x1
	scratch_store_b32 off, v6, off offset:76
	scratch_store_b32 off, v7, off offset:84
	v_add3_u32 v78, v60, v5, v7
	scratch_load_b32 v5, off, off           ; 4-byte Folded Reload
	s_wait_dscnt 0x0
	v_add_nc_u16 v4, v4, 1
	ds_store_b16 v104, v4
	ds_load_u16 v4, v78
	s_wait_loadcnt 0x0
	ds_load_b128 v[44:47], v5
	ds_load_b128 v[40:43], v5 offset:16
	ds_load_b128 v[36:39], v5 offset:32
	;; [unrolled: 1-line block ×3, first 2 shown]
	s_wait_dscnt 0x4
	v_add_nc_u16 v4, v4, 1
	ds_store_b16 v78, v4
	ds_load_b128 v[28:31], v5 offset:64
	s_wait_xcnt 0x1
	ds_load_b128 v[4:7], v5 offset:80
	s_wait_storecnt_dscnt 0x0
	s_barrier_signal -1
	s_barrier_wait -1
	s_branch .LBB1_102
.LBB1_101:                              ;   in Loop: Header=BB1_102 Depth=2
	s_or_b32 exec_lo, exec_lo, s31
	s_add_co_i32 s30, s30, 8
	s_delay_alu instid0(SALU_CYCLE_1)
	s_cmp_eq_u32 s30, 32
	s_cbranch_scc1 .LBB1_132
.LBB1_102:                              ;   Parent Loop BB1_52 Depth=1
                                        ; =>  This Inner Loop Header: Depth=2
	v_add_nc_u32_e32 v97, s30, v60
	ds_load_b64 v[48:49], v97
	s_wait_dscnt 0x0
	ds_store_b64 v61, v[48:49]
	s_wait_dscnt 0x0
	s_barrier_signal -1
	s_barrier_wait -1
	s_wait_xcnt 0x0
	s_and_saveexec_b32 s31, s23
	s_cbranch_execz .LBB1_104
; %bb.103:                              ;   in Loop: Header=BB1_102 Depth=2
	v_add_nc_u32_e32 v118, v61, v59
	ds_load_b128 v[106:109], v118
	s_wait_dscnt 0x0
	v_add_nc_u64_e32 v[48:49], v[108:109], v[106:107]
	ds_store_b64 v118, v[48:49] offset:8
.LBB1_104:                              ;   in Loop: Header=BB1_102 Depth=2
	s_or_b32 exec_lo, exec_lo, s31
	s_wait_dscnt 0x0
	s_barrier_signal -1
	s_barrier_wait -1
	s_and_saveexec_b32 s31, s24
	s_cbranch_execz .LBB1_106
; %bb.105:                              ;   in Loop: Header=BB1_102 Depth=2
	ds_load_b64 v[48:49], v63 offset:28696
	ds_load_b64 v[106:107], v62 offset:28696
	s_wait_dscnt 0x0
	v_add_nc_u64_e32 v[48:49], v[106:107], v[48:49]
	ds_store_b64 v62, v[48:49] offset:28696
.LBB1_106:                              ;   in Loop: Header=BB1_102 Depth=2
	s_or_b32 exec_lo, exec_lo, s31
	s_wait_dscnt 0x0
	s_barrier_signal -1
	s_barrier_wait -1
	s_and_saveexec_b32 s31, s25
	s_cbranch_execz .LBB1_108
; %bb.107:                              ;   in Loop: Header=BB1_102 Depth=2
	ds_load_b64 v[48:49], v65 offset:28696
	ds_load_b64 v[106:107], v64 offset:28696
	s_wait_dscnt 0x0
	v_add_nc_u64_e32 v[48:49], v[106:107], v[48:49]
	ds_store_b64 v64, v[48:49] offset:28696
.LBB1_108:                              ;   in Loop: Header=BB1_102 Depth=2
	s_or_b32 exec_lo, exec_lo, s31
	s_wait_dscnt 0x0
	s_barrier_signal -1
	s_barrier_wait -1
	s_and_saveexec_b32 s31, s26
	s_cbranch_execz .LBB1_110
; %bb.109:                              ;   in Loop: Header=BB1_102 Depth=2
	ds_load_b64 v[48:49], v67 offset:28696
	ds_load_b64 v[106:107], v66 offset:28696
	s_wait_dscnt 0x0
	v_add_nc_u64_e32 v[48:49], v[106:107], v[48:49]
	ds_store_b64 v66, v[48:49] offset:28696
.LBB1_110:                              ;   in Loop: Header=BB1_102 Depth=2
	s_or_b32 exec_lo, exec_lo, s31
	s_wait_dscnt 0x0
	s_barrier_signal -1
	s_barrier_wait -1
	s_and_saveexec_b32 s31, s27
	s_cbranch_execz .LBB1_112
; %bb.111:                              ;   in Loop: Header=BB1_102 Depth=2
	ds_load_b64 v[48:49], v69 offset:28696
	ds_load_b64 v[106:107], v68 offset:28696
	s_wait_dscnt 0x0
	v_add_nc_u64_e32 v[48:49], v[106:107], v[48:49]
	ds_store_b64 v68, v[48:49] offset:28696
.LBB1_112:                              ;   in Loop: Header=BB1_102 Depth=2
	s_or_b32 exec_lo, exec_lo, s31
	s_wait_dscnt 0x0
	s_barrier_signal -1
	s_barrier_wait -1
	s_and_saveexec_b32 s31, s28
	s_cbranch_execz .LBB1_114
; %bb.113:                              ;   in Loop: Header=BB1_102 Depth=2
	ds_load_b64 v[48:49], v71 offset:28696
	ds_load_b64 v[106:107], v70 offset:28696
	s_wait_dscnt 0x0
	v_add_nc_u64_e32 v[48:49], v[106:107], v[48:49]
	ds_store_b64 v70, v[48:49] offset:28696
.LBB1_114:                              ;   in Loop: Header=BB1_102 Depth=2
	s_or_b32 exec_lo, exec_lo, s31
	s_wait_dscnt 0x0
	s_barrier_signal -1
	s_barrier_wait -1
	s_and_saveexec_b32 s31, s29
	s_cbranch_execz .LBB1_116
; %bb.115:                              ;   in Loop: Header=BB1_102 Depth=2
	v_add_nc_u32_e64 v48, 24, 0
	ds_load_2addr_stride64_b64 v[106:109], v48 offset0:57 offset1:58
	s_wait_dscnt 0x0
	v_add_nc_u64_e32 v[48:49], v[108:109], v[106:107]
	ds_store_b64 v76, v[48:49] offset:29720
.LBB1_116:                              ;   in Loop: Header=BB1_102 Depth=2
	s_or_b32 exec_lo, exec_lo, s31
	s_wait_dscnt 0x0
	s_barrier_signal -1
	s_barrier_wait -1
	s_barrier_signal -1
	s_barrier_wait -1
	s_and_saveexec_b32 s31, s29
	s_cbranch_execz .LBB1_118
; %bb.117:                              ;   in Loop: Header=BB1_102 Depth=2
	ds_load_b64 v[48:49], v76 offset:29720
	v_add_nc_u32_e64 v118, 24, 0
	s_wait_dscnt 0x0
	ds_store_b64 v76, v[48:49] offset:29728
	s_wait_dscnt 0x0
	ds_store_b64 v76, v[52:53] offset:29720
	s_wait_dscnt 0x0
	ds_load_2addr_stride64_b64 v[106:109], v118 offset0:57 offset1:58
	s_wait_dscnt 0x0
	v_add_nc_u64_e32 v[48:49], v[108:109], v[106:107]
	ds_store_2addr_stride64_b64 v118, v[108:109], v[48:49] offset0:57 offset1:58
.LBB1_118:                              ;   in Loop: Header=BB1_102 Depth=2
	s_or_b32 exec_lo, exec_lo, s31
	s_wait_dscnt 0x0
	s_barrier_signal -1
	s_barrier_wait -1
	s_and_saveexec_b32 s31, s28
	s_cbranch_execz .LBB1_120
; %bb.119:                              ;   in Loop: Header=BB1_102 Depth=2
	ds_load_b64 v[48:49], v71 offset:28696
	ds_load_b64 v[106:107], v70 offset:28696
	s_wait_dscnt 0x0
	v_add_nc_u64_e32 v[48:49], v[106:107], v[48:49]
	ds_store_b64 v71, v[106:107] offset:28696
	ds_store_b64 v70, v[48:49] offset:28696
.LBB1_120:                              ;   in Loop: Header=BB1_102 Depth=2
	s_or_b32 exec_lo, exec_lo, s31
	s_wait_dscnt 0x0
	s_barrier_signal -1
	s_barrier_wait -1
	s_and_saveexec_b32 s31, s27
	s_cbranch_execz .LBB1_122
; %bb.121:                              ;   in Loop: Header=BB1_102 Depth=2
	ds_load_b64 v[48:49], v69 offset:28696
	ds_load_b64 v[106:107], v68 offset:28696
	s_wait_dscnt 0x0
	v_add_nc_u64_e32 v[48:49], v[106:107], v[48:49]
	ds_store_b64 v69, v[106:107] offset:28696
	ds_store_b64 v68, v[48:49] offset:28696
.LBB1_122:                              ;   in Loop: Header=BB1_102 Depth=2
	;; [unrolled: 14-line block ×5, first 2 shown]
	s_or_b32 exec_lo, exec_lo, s31
	s_wait_dscnt 0x0
	s_barrier_signal -1
	s_barrier_wait -1
	s_and_saveexec_b32 s31, s23
	s_cbranch_execz .LBB1_130
; %bb.129:                              ;   in Loop: Header=BB1_102 Depth=2
	v_add_nc_u32_e32 v48, v61, v59
	ds_load_b128 v[106:109], v48
	s_wait_dscnt 0x0
	v_add_nc_u64_e32 v[120:121], v[108:109], v[106:107]
	v_dual_mov_b32 v118, v108 :: v_dual_mov_b32 v119, v109
	ds_store_b128 v48, v[118:121]
.LBB1_130:                              ;   in Loop: Header=BB1_102 Depth=2
	s_or_b32 exec_lo, exec_lo, s31
	s_wait_dscnt 0x0
	s_barrier_signal -1
	s_barrier_wait -1
	s_barrier_signal -1
	s_barrier_wait -1
	ds_load_b64 v[48:49], v76 offset:29728
	s_wait_dscnt 0x0
	s_barrier_signal -1
	s_barrier_wait -1
	ds_load_b64 v[106:107], v61
	s_wait_dscnt 0x0
	ds_store_b64 v97, v[106:107]
	s_and_saveexec_b32 s31, s29
	s_cbranch_execz .LBB1_101
; %bb.131:                              ;   in Loop: Header=BB1_102 Depth=2
	v_mov_b32_e32 v97, s30
	ds_store_b64 v97, v[48:49] offset:28672
	s_branch .LBB1_101
.LBB1_132:                              ;   in Loop: Header=BB1_52 Depth=1
	s_wait_dscnt 0x0
	s_barrier_signal -1
	s_barrier_wait -1
	s_and_saveexec_b32 s30, s26
	s_cbranch_execz .LBB1_134
; %bb.133:                              ;   in Loop: Header=BB1_52 Depth=1
	scratch_load_b32 v97, off, off offset:24 ; 4-byte Folded Reload
	s_wait_loadcnt 0x0
	ds_load_b32 v48, v97 offset:4096
	s_wait_dscnt 0x0
	v_lshrrev_b32_e32 v49, 16, v48
	s_delay_alu instid0(VALU_DEP_1)
	v_add_nc_u16 v48, v49, v48
	ds_store_b16 v97, v48 offset:4098
.LBB1_134:                              ;   in Loop: Header=BB1_52 Depth=1
	s_or_b32 exec_lo, exec_lo, s30
	s_wait_dscnt 0x0
	s_barrier_signal -1
	s_barrier_wait -1
	s_and_saveexec_b32 s30, s27
	s_cbranch_execz .LBB1_136
; %bb.135:                              ;   in Loop: Header=BB1_52 Depth=1
	s_clause 0x1
	scratch_load_b32 v48, off, off offset:8
	scratch_load_b32 v97, off, off offset:12
	s_wait_loadcnt 0x1
	ds_load_u16 v48, v48 offset:28670
	s_wait_loadcnt 0x0
	ds_load_u16 v49, v97 offset:28670
	s_wait_dscnt 0x0
	v_add_nc_u16 v48, v49, v48
	ds_store_b16 v97, v48 offset:28670
.LBB1_136:                              ;   in Loop: Header=BB1_52 Depth=1
	s_or_b32 exec_lo, exec_lo, s30
	s_wait_dscnt 0x0
	s_barrier_signal -1
	s_barrier_wait -1
	s_and_saveexec_b32 s30, s28
	s_cbranch_execz .LBB1_138
; %bb.137:                              ;   in Loop: Header=BB1_52 Depth=1
	s_clause 0x1
	scratch_load_b32 v48, off, off offset:16
	scratch_load_b32 v97, off, off offset:20
	s_wait_loadcnt 0x1
	ds_load_u16 v48, v48 offset:28670
	s_wait_loadcnt 0x0
	ds_load_u16 v49, v97 offset:28670
	s_wait_dscnt 0x0
	v_add_nc_u16 v48, v49, v48
	ds_store_b16 v97, v48 offset:28670
.LBB1_138:                              ;   in Loop: Header=BB1_52 Depth=1
	s_or_b32 exec_lo, exec_lo, s30
	s_wait_dscnt 0x0
	s_barrier_signal -1
	s_barrier_wait -1
	s_and_saveexec_b32 s30, s29
	s_cbranch_execz .LBB1_140
; %bb.139:                              ;   in Loop: Header=BB1_52 Depth=1
	ds_load_u16 v48, v76 offset:28686
	ds_load_u16 v49, v76 offset:28702
	s_wait_dscnt 0x0
	v_add_nc_u32_e32 v48, v49, v48
	ds_store_b16 v76, v48 offset:28702
.LBB1_140:                              ;   in Loop: Header=BB1_52 Depth=1
	s_or_b32 exec_lo, exec_lo, s30
	s_wait_dscnt 0x0
	s_barrier_signal -1
	s_barrier_wait -1
	s_barrier_signal -1
	s_barrier_wait -1
	s_and_saveexec_b32 s30, s29
	s_cbranch_execz .LBB1_142
; %bb.141:                              ;   in Loop: Header=BB1_52 Depth=1
	ds_load_u16 v48, v76 offset:28702
	s_wait_dscnt 0x0
	ds_store_b16 v76, v48 offset:29736
	s_wait_dscnt 0x0
	ds_store_b16 v76, v76 offset:28702
	s_wait_dscnt 0x0
	ds_load_u16 v48, v76 offset:28686
	ds_load_u16 v49, v76 offset:28702
	s_wait_dscnt 0x0
	v_add_nc_u32_e32 v48, v49, v48
	ds_store_b16 v76, v49 offset:28686
	ds_store_b16 v76, v48 offset:28702
.LBB1_142:                              ;   in Loop: Header=BB1_52 Depth=1
	s_or_b32 exec_lo, exec_lo, s30
	s_wait_dscnt 0x0
	s_barrier_signal -1
	s_barrier_wait -1
	s_and_saveexec_b32 s30, s28
	s_cbranch_execz .LBB1_144
; %bb.143:                              ;   in Loop: Header=BB1_52 Depth=1
	s_clause 0x1
	scratch_load_b32 v97, off, off offset:16
	scratch_load_b32 v106, off, off offset:20
	s_wait_loadcnt 0x1
	ds_load_u16 v48, v97 offset:28670
	s_wait_loadcnt 0x0
	ds_load_u16 v49, v106 offset:28670
	s_wait_dscnt 0x0
	v_add_nc_u16 v48, v49, v48
	ds_store_b16 v97, v49 offset:28670
	ds_store_b16 v106, v48 offset:28670
.LBB1_144:                              ;   in Loop: Header=BB1_52 Depth=1
	s_or_b32 exec_lo, exec_lo, s30
	s_wait_dscnt 0x0
	s_barrier_signal -1
	s_barrier_wait -1
	s_and_saveexec_b32 s30, s27
	s_cbranch_execz .LBB1_146
; %bb.145:                              ;   in Loop: Header=BB1_52 Depth=1
	s_clause 0x1
	scratch_load_b32 v97, off, off offset:8
	scratch_load_b32 v106, off, off offset:12
	s_wait_loadcnt 0x1
	ds_load_u16 v48, v97 offset:28670
	s_wait_loadcnt 0x0
	ds_load_u16 v49, v106 offset:28670
	s_wait_dscnt 0x0
	v_add_nc_u16 v48, v49, v48
	ds_store_b16 v97, v49 offset:28670
	ds_store_b16 v106, v48 offset:28670
.LBB1_146:                              ;   in Loop: Header=BB1_52 Depth=1
	s_or_b32 exec_lo, exec_lo, s30
	s_wait_dscnt 0x0
	s_barrier_signal -1
	s_barrier_wait -1
	s_and_saveexec_b32 s30, s26
	s_cbranch_execz .LBB1_148
; %bb.147:                              ;   in Loop: Header=BB1_52 Depth=1
	scratch_load_b32 v97, off, off offset:24 ; 4-byte Folded Reload
	s_wait_loadcnt 0x0
	ds_load_b32 v48, v97 offset:4096
	s_wait_dscnt 0x0
	v_lshrrev_b32_e32 v49, 16, v48
	s_delay_alu instid0(VALU_DEP_1) | instskip(NEXT) | instid1(VALU_DEP_1)
	v_add_nc_u16 v49, v49, v48
	v_alignbit_b32 v48, v49, v48, 16
	ds_store_b32 v97, v48 offset:4096
.LBB1_148:                              ;   in Loop: Header=BB1_52 Depth=1
	s_or_b32 exec_lo, exec_lo, s30
	s_wait_dscnt 0x0
	s_barrier_signal -1
	s_barrier_wait -1
	s_barrier_signal -1
	s_barrier_wait -1
	;; [unrolled: 2-line block ×3, first 2 shown]
	s_clause 0x1
	scratch_load_b32 v48, off, off offset:100 th:TH_LOAD_LU
	scratch_load_b32 v49, off, off offset:112 th:TH_LOAD_LU
	s_add_co_i32 s45, s45, 8
	s_delay_alu instid0(SALU_CYCLE_1)
	s_cmp_ge_i32 s45, s46
	s_wait_loadcnt 0x0
	v_lshl_or_b32 v48, v48, 3, v49
	ds_load_u16 v48, v48 offset:28672
	ds_load_u16 v49, v89
	s_wait_dscnt 0x0
	v_add_nc_u16 v97, v49, 1
	v_and_b32_e32 v49, 0xffff, v49
	ds_store_b16 v89, v97
	v_add_lshl_u32 v48, v49, v48, 2
	ds_store_2addr_stride64_b32 v48, v12, v44 offset1:48
	s_clause 0x1
	scratch_load_b32 v12, off, off offset:64 th:TH_LOAD_LU
	scratch_load_b32 v44, off, off offset:68 th:TH_LOAD_LU
	s_wait_loadcnt 0x0
	v_lshl_or_b32 v12, v12, 3, v44
	ds_load_u16 v12, v12 offset:28672
	ds_load_u16 v44, v82
	s_wait_dscnt 0x0
	v_add_nc_u16 v48, v44, 1
	v_and_b32_e32 v44, 0xffff, v44
	ds_store_b16 v82, v48
	v_add_lshl_u32 v12, v44, v12, 2
	ds_store_2addr_stride64_b32 v12, v13, v45 offset1:48
	s_clause 0x1
	scratch_load_b32 v12, off, off offset:28 th:TH_LOAD_LU
	scratch_load_b32 v13, off, off offset:44 th:TH_LOAD_LU
	s_wait_loadcnt 0x0
	v_lshl_or_b32 v12, v12, 3, v13
	ds_load_u16 v12, v12 offset:28672
	ds_load_u16 v13, v79
	s_wait_dscnt 0x0
	v_add_nc_u16 v44, v13, 1
	v_and_b32_e32 v13, 0xffff, v13
	ds_store_b16 v79, v44
	v_add_lshl_u32 v12, v13, v12, 2
	ds_store_2addr_stride64_b32 v12, v14, v46 offset1:48
	v_lshl_or_b32 v12, v92, 3, v93
	ds_load_u16 v12, v12 offset:28672
	ds_load_u16 v13, v77
	s_wait_dscnt 0x0
	v_add_nc_u16 v14, v13, 1
	v_and_b32_e32 v13, 0xffff, v13
	ds_store_b16 v77, v14
	v_add_lshl_u32 v12, v13, v12, 2
	ds_store_2addr_stride64_b32 v12, v15, v47 offset1:48
	;; [unrolled: 9-line block ×7, first 2 shown]
	s_clause 0x1
	scratch_load_b32 v12, off, off offset:88 th:TH_LOAD_LU
	scratch_load_b32 v13, off, off offset:92 th:TH_LOAD_LU
	s_wait_loadcnt 0x0
	v_lshl_or_b32 v12, v12, 3, v13
	ds_load_u16 v12, v12 offset:28672
	ds_load_u16 v13, v88
	s_wait_dscnt 0x0
	v_add_nc_u16 v14, v13, 1
	v_and_b32_e32 v13, 0xffff, v13
	ds_store_b16 v88, v14
	v_add_lshl_u32 v12, v13, v12, 2
	ds_store_2addr_stride64_b32 v12, v17, v37 offset1:48
	s_clause 0x1
	scratch_load_b32 v12, off, off offset:56 th:TH_LOAD_LU
	scratch_load_b32 v13, off, off offset:60 th:TH_LOAD_LU
	s_wait_loadcnt 0x0
	v_lshl_or_b32 v12, v12, 3, v13
	ds_load_u16 v12, v12 offset:28672
	ds_load_u16 v13, v81
	s_wait_dscnt 0x0
	v_add_nc_u16 v14, v13, 1
	v_and_b32_e32 v13, 0xffff, v13
	ds_store_b16 v81, v14
	v_add_lshl_u32 v12, v13, v12, 2
	ds_store_2addr_stride64_b32 v12, v18, v38 offset1:48
	v_lshl_or_b32 v12, v95, 3, v96
	ds_load_u16 v12, v12 offset:28672
	ds_load_u16 v13, v56
	s_wait_dscnt 0x0
	v_add_nc_u16 v14, v13, 1
	v_and_b32_e32 v13, 0xffff, v13
	ds_store_b16 v56, v14
	v_add_lshl_u32 v12, v13, v12, 2
	ds_store_2addr_stride64_b32 v12, v19, v39 offset1:48
	;; [unrolled: 9-line block ×6, first 2 shown]
	scratch_load_b32 v12, off, off offset:108 th:TH_LOAD_LU ; 4-byte Folded Reload
	s_wait_loadcnt 0x0
	v_lshl_or_b32 v12, v12, 3, v102
	ds_load_u16 v12, v12 offset:28672
	ds_load_u16 v13, v94
	s_wait_dscnt 0x0
	v_add_nc_u16 v14, v13, 1
	v_and_b32_e32 v13, 0xffff, v13
	ds_store_b16 v94, v14
	v_add_lshl_u32 v12, v13, v12, 2
	ds_store_2addr_stride64_b32 v12, v8, v28 offset1:48
	s_clause 0x1
	scratch_load_b32 v8, off, off offset:72 th:TH_LOAD_LU
	scratch_load_b32 v12, off, off offset:80 th:TH_LOAD_LU
	s_wait_loadcnt 0x0
	v_lshl_or_b32 v8, v8, 3, v12
	ds_load_u16 v8, v8 offset:28672
	ds_load_u16 v12, v85
	s_wait_dscnt 0x0
	v_add_nc_u16 v13, v12, 1
	v_and_b32_e32 v12, 0xffff, v12
	ds_store_b16 v85, v13
	v_add_lshl_u32 v8, v12, v8, 2
	ds_store_2addr_stride64_b32 v8, v9, v29 offset1:48
	s_clause 0x1
	scratch_load_b32 v8, off, off offset:48 th:TH_LOAD_LU
	scratch_load_b32 v9, off, off offset:52 th:TH_LOAD_LU
	s_wait_loadcnt 0x0
	v_lshl_or_b32 v8, v8, 3, v9
	ds_load_u16 v8, v8 offset:28672
	ds_load_u16 v9, v80
	s_wait_dscnt 0x0
	v_add_nc_u16 v12, v9, 1
	v_and_b32_e32 v9, 0xffff, v9
	ds_store_b16 v80, v12
	v_add_lshl_u32 v8, v9, v8, 2
	ds_store_2addr_stride64_b32 v8, v10, v30 offset1:48
	v_lshl_or_b32 v8, v86, 3, v90
	ds_load_u16 v8, v8 offset:28672
	ds_load_u16 v9, v50
	s_wait_dscnt 0x0
	v_add_nc_u16 v10, v9, 1
	v_and_b32_e32 v9, 0xffff, v9
	ds_store_b16 v50, v10
	v_add_lshl_u32 v8, v9, v8, 2
	ds_store_2addr_stride64_b32 v8, v11, v31 offset1:48
	;; [unrolled: 9-line block ×4, first 2 shown]
	s_clause 0x1
	scratch_load_b32 v0, off, off offset:96 th:TH_LOAD_LU
	scratch_load_b32 v1, off, off offset:104 th:TH_LOAD_LU
	s_wait_loadcnt 0x0
	v_lshl_or_b32 v0, v0, 3, v1
	ds_load_u16 v0, v0 offset:28672
	ds_load_u16 v1, v104
	s_wait_dscnt 0x0
	v_add_nc_u16 v4, v1, 1
	v_and_b32_e32 v1, 0xffff, v1
	ds_store_b16 v104, v4
	v_add_lshl_u32 v0, v1, v0, 2
	ds_store_2addr_stride64_b32 v0, v2, v6 offset1:48
	s_clause 0x1
	scratch_load_b32 v0, off, off offset:76 th:TH_LOAD_LU
	scratch_load_b32 v1, off, off offset:84 th:TH_LOAD_LU
	s_wait_loadcnt 0x0
	v_lshl_or_b32 v0, v0, 3, v1
	ds_load_u16 v0, v0 offset:28672
	ds_load_u16 v1, v78
	s_wait_dscnt 0x0
	v_add_nc_u16 v2, v1, 1
	v_and_b32_e32 v1, 0xffff, v1
	ds_store_b16 v78, v2
	v_add_lshl_u32 v0, v1, v0, 2
	ds_store_2addr_stride64_b32 v0, v3, v7 offset1:48
	s_wait_dscnt 0x0
	s_barrier_signal -1
	s_barrier_wait -1
	scratch_load_b32 v0, off, off offset:4  ; 4-byte Folded Reload
	s_wait_loadcnt 0x0
	ds_load_b128 v[2:5], v0
	ds_load_b128 v[10:13], v0 offset:16
	ds_load_b128 v[18:21], v0 offset:32
	;; [unrolled: 1-line block ×3, first 2 shown]
	scratch_load_b32 v1, off, off           ; 4-byte Folded Reload
	s_wait_loadcnt 0x0
	ds_load_b128 v[54:57], v1
	ds_load_b128 v[14:17], v1 offset:16
	ds_load_b128 v[22:25], v1 offset:32
	;; [unrolled: 1-line block ×7, first 2 shown]
	s_cbranch_scc1 .LBB1_150
; %bb.149:                              ;   in Loop: Header=BB1_52 Depth=1
	s_wait_dscnt 0x7
	scratch_store_b128 off, v[54:57], off offset:28 ; 16-byte Folded Spill
	s_branch .LBB1_52
.LBB1_150:
	s_wait_xcnt 0x0
	s_and_saveexec_b32 s23, vcc_lo
	s_cbranch_execnz .LBB1_174
; %bb.151:
	s_or_b32 exec_lo, exec_lo, s23
	s_and_saveexec_b32 s23, s0
	s_cbranch_execnz .LBB1_175
.LBB1_152:
	s_or_b32 exec_lo, exec_lo, s23
	s_and_saveexec_b32 s0, s1
	s_cbranch_execnz .LBB1_176
.LBB1_153:
	s_or_b32 exec_lo, exec_lo, s0
	s_and_saveexec_b32 s0, s2
	s_cbranch_execnz .LBB1_177
.LBB1_154:
	s_or_b32 exec_lo, exec_lo, s0
	s_and_saveexec_b32 s0, s3
	s_cbranch_execnz .LBB1_178
.LBB1_155:
	s_or_b32 exec_lo, exec_lo, s0
	s_and_saveexec_b32 s0, s4
	s_cbranch_execnz .LBB1_179
.LBB1_156:
	s_or_b32 exec_lo, exec_lo, s0
	s_and_saveexec_b32 s0, s5
	s_cbranch_execnz .LBB1_180
.LBB1_157:
	s_or_b32 exec_lo, exec_lo, s0
	s_and_saveexec_b32 s0, s6
	s_cbranch_execnz .LBB1_181
.LBB1_158:
	s_or_b32 exec_lo, exec_lo, s0
	s_and_saveexec_b32 s0, s7
	s_cbranch_execnz .LBB1_182
.LBB1_159:
	s_or_b32 exec_lo, exec_lo, s0
	s_and_saveexec_b32 s0, s8
	s_cbranch_execnz .LBB1_183
.LBB1_160:
	s_or_b32 exec_lo, exec_lo, s0
	s_and_saveexec_b32 s0, s9
	s_cbranch_execnz .LBB1_184
.LBB1_161:
	s_or_b32 exec_lo, exec_lo, s0
	s_and_saveexec_b32 s0, s10
	s_cbranch_execnz .LBB1_185
.LBB1_162:
	s_or_b32 exec_lo, exec_lo, s0
	s_and_saveexec_b32 s0, s11
	s_cbranch_execnz .LBB1_186
.LBB1_163:
	s_or_b32 exec_lo, exec_lo, s0
	s_and_saveexec_b32 s0, s12
	s_cbranch_execnz .LBB1_187
.LBB1_164:
	s_or_b32 exec_lo, exec_lo, s0
	s_and_saveexec_b32 s0, s13
	s_cbranch_execnz .LBB1_188
.LBB1_165:
	s_or_b32 exec_lo, exec_lo, s0
	s_and_saveexec_b32 s0, s14
	s_cbranch_execnz .LBB1_189
.LBB1_166:
	s_or_b32 exec_lo, exec_lo, s0
	s_and_saveexec_b32 s0, s15
	s_cbranch_execnz .LBB1_190
.LBB1_167:
	s_or_b32 exec_lo, exec_lo, s0
	s_and_saveexec_b32 s0, s16
	s_cbranch_execnz .LBB1_191
.LBB1_168:
	s_or_b32 exec_lo, exec_lo, s0
	s_and_saveexec_b32 s0, s17
	s_cbranch_execnz .LBB1_192
.LBB1_169:
	s_or_b32 exec_lo, exec_lo, s0
	s_and_saveexec_b32 s0, s18
	s_cbranch_execnz .LBB1_193
.LBB1_170:
	s_or_b32 exec_lo, exec_lo, s0
	s_and_saveexec_b32 s0, s19
	s_cbranch_execnz .LBB1_194
.LBB1_171:
	s_or_b32 exec_lo, exec_lo, s0
	s_and_saveexec_b32 s0, s20
	s_cbranch_execnz .LBB1_195
.LBB1_172:
	s_or_b32 exec_lo, exec_lo, s0
	s_and_saveexec_b32 s0, s21
	s_cbranch_execnz .LBB1_196
.LBB1_173:
	s_or_b32 exec_lo, exec_lo, s0
	s_and_saveexec_b32 s0, s22
	s_cbranch_execz .LBB1_1
	s_branch .LBB1_197
.LBB1_174:
	scratch_load_b32 v0, off, off offset:132 ; 4-byte Folded Reload
	s_wait_loadcnt_dscnt 0xb
	global_store_b32 v0, v2, s[40:41] scale_offset
	s_wait_dscnt 0x7
	global_store_b32 v0, v54, s[42:43] scale_offset
	s_wait_xcnt 0x0
	s_or_b32 exec_lo, exec_lo, s23
	s_and_saveexec_b32 s23, s0
	s_cbranch_execz .LBB1_152
.LBB1_175:
	scratch_load_b32 v0, off, off offset:132 ; 4-byte Folded Reload
	s_wait_loadcnt_dscnt 0xb
	global_store_b32 v0, v3, s[40:41] offset:4 scale_offset
	s_wait_dscnt 0x7
	global_store_b32 v0, v55, s[42:43] offset:4 scale_offset
	s_wait_xcnt 0x0
	s_or_b32 exec_lo, exec_lo, s23
	s_and_saveexec_b32 s0, s1
	s_cbranch_execz .LBB1_153
.LBB1_176:
	scratch_load_b32 v0, off, off offset:132 ; 4-byte Folded Reload
	s_wait_loadcnt_dscnt 0xb
	global_store_b32 v0, v4, s[40:41] offset:8 scale_offset
	s_wait_dscnt 0x7
	global_store_b32 v0, v56, s[42:43] offset:8 scale_offset
	s_wait_xcnt 0x0
	s_or_b32 exec_lo, exec_lo, s0
	s_and_saveexec_b32 s0, s2
	s_cbranch_execz .LBB1_154
.LBB1_177:
	scratch_load_b32 v0, off, off offset:132 ; 4-byte Folded Reload
	s_wait_loadcnt_dscnt 0xb
	global_store_b32 v0, v5, s[40:41] offset:12 scale_offset
	s_wait_dscnt 0x7
	global_store_b32 v0, v57, s[42:43] offset:12 scale_offset
	s_wait_xcnt 0x0
	s_or_b32 exec_lo, exec_lo, s0
	s_and_saveexec_b32 s0, s3
	s_cbranch_execz .LBB1_155
.LBB1_178:
	scratch_load_b32 v0, off, off offset:132 ; 4-byte Folded Reload
	s_wait_loadcnt_dscnt 0xa
	global_store_b32 v0, v10, s[40:41] offset:16 scale_offset
	s_wait_dscnt 0x6
	global_store_b32 v0, v14, s[42:43] offset:16 scale_offset
	s_wait_xcnt 0x0
	s_or_b32 exec_lo, exec_lo, s0
	s_and_saveexec_b32 s0, s4
	s_cbranch_execz .LBB1_156
.LBB1_179:
	scratch_load_b32 v0, off, off offset:132 ; 4-byte Folded Reload
	s_wait_loadcnt_dscnt 0xa
	global_store_b32 v0, v11, s[40:41] offset:20 scale_offset
	s_wait_dscnt 0x6
	global_store_b32 v0, v15, s[42:43] offset:20 scale_offset
	s_wait_xcnt 0x0
	s_or_b32 exec_lo, exec_lo, s0
	s_and_saveexec_b32 s0, s5
	s_cbranch_execz .LBB1_157
.LBB1_180:
	scratch_load_b32 v0, off, off offset:132 ; 4-byte Folded Reload
	s_wait_loadcnt_dscnt 0xa
	global_store_b32 v0, v12, s[40:41] offset:24 scale_offset
	s_wait_dscnt 0x6
	global_store_b32 v0, v16, s[42:43] offset:24 scale_offset
	s_wait_xcnt 0x0
	s_or_b32 exec_lo, exec_lo, s0
	s_and_saveexec_b32 s0, s6
	s_cbranch_execz .LBB1_158
.LBB1_181:
	scratch_load_b32 v0, off, off offset:132 ; 4-byte Folded Reload
	s_wait_loadcnt_dscnt 0xa
	global_store_b32 v0, v13, s[40:41] offset:28 scale_offset
	s_wait_dscnt 0x6
	global_store_b32 v0, v17, s[42:43] offset:28 scale_offset
	s_wait_xcnt 0x0
	s_or_b32 exec_lo, exec_lo, s0
	s_and_saveexec_b32 s0, s7
	s_cbranch_execz .LBB1_159
.LBB1_182:
	scratch_load_b32 v0, off, off offset:132 ; 4-byte Folded Reload
	s_wait_loadcnt_dscnt 0x9
	global_store_b32 v0, v18, s[40:41] offset:32 scale_offset
	s_wait_dscnt 0x5
	global_store_b32 v0, v22, s[42:43] offset:32 scale_offset
	s_wait_xcnt 0x0
	s_or_b32 exec_lo, exec_lo, s0
	s_and_saveexec_b32 s0, s8
	s_cbranch_execz .LBB1_160
.LBB1_183:
	scratch_load_b32 v0, off, off offset:132 ; 4-byte Folded Reload
	s_wait_loadcnt_dscnt 0x9
	global_store_b32 v0, v19, s[40:41] offset:36 scale_offset
	s_wait_dscnt 0x5
	global_store_b32 v0, v23, s[42:43] offset:36 scale_offset
	s_wait_xcnt 0x0
	s_or_b32 exec_lo, exec_lo, s0
	s_and_saveexec_b32 s0, s9
	s_cbranch_execz .LBB1_161
.LBB1_184:
	scratch_load_b32 v0, off, off offset:132 ; 4-byte Folded Reload
	s_wait_loadcnt_dscnt 0x9
	global_store_b32 v0, v20, s[40:41] offset:40 scale_offset
	s_wait_dscnt 0x5
	global_store_b32 v0, v24, s[42:43] offset:40 scale_offset
	s_wait_xcnt 0x0
	s_or_b32 exec_lo, exec_lo, s0
	s_and_saveexec_b32 s0, s10
	s_cbranch_execz .LBB1_162
.LBB1_185:
	scratch_load_b32 v0, off, off offset:132 ; 4-byte Folded Reload
	s_wait_loadcnt_dscnt 0x9
	global_store_b32 v0, v21, s[40:41] offset:44 scale_offset
	s_wait_dscnt 0x5
	global_store_b32 v0, v25, s[42:43] offset:44 scale_offset
	s_wait_xcnt 0x0
	s_or_b32 exec_lo, exec_lo, s0
	s_and_saveexec_b32 s0, s11
	s_cbranch_execz .LBB1_163
.LBB1_186:
	scratch_load_b32 v0, off, off offset:132 ; 4-byte Folded Reload
	s_wait_loadcnt_dscnt 0x8
	global_store_b32 v0, v26, s[40:41] offset:48 scale_offset
	s_wait_dscnt 0x4
	global_store_b32 v0, v30, s[42:43] offset:48 scale_offset
	s_wait_xcnt 0x0
	s_or_b32 exec_lo, exec_lo, s0
	s_and_saveexec_b32 s0, s12
	s_cbranch_execz .LBB1_164
.LBB1_187:
	scratch_load_b32 v0, off, off offset:132 ; 4-byte Folded Reload
	s_wait_loadcnt_dscnt 0x8
	global_store_b32 v0, v27, s[40:41] offset:52 scale_offset
	s_wait_dscnt 0x4
	global_store_b32 v0, v31, s[42:43] offset:52 scale_offset
	s_wait_xcnt 0x0
	s_or_b32 exec_lo, exec_lo, s0
	s_and_saveexec_b32 s0, s13
	s_cbranch_execz .LBB1_165
.LBB1_188:
	scratch_load_b32 v0, off, off offset:132 ; 4-byte Folded Reload
	s_wait_loadcnt_dscnt 0x8
	global_store_b32 v0, v28, s[40:41] offset:56 scale_offset
	s_wait_dscnt 0x4
	global_store_b32 v0, v32, s[42:43] offset:56 scale_offset
	s_wait_xcnt 0x0
	s_or_b32 exec_lo, exec_lo, s0
	s_and_saveexec_b32 s0, s14
	s_cbranch_execz .LBB1_166
.LBB1_189:
	scratch_load_b32 v0, off, off offset:132 ; 4-byte Folded Reload
	s_wait_loadcnt_dscnt 0x8
	global_store_b32 v0, v29, s[40:41] offset:60 scale_offset
	s_wait_dscnt 0x4
	global_store_b32 v0, v33, s[42:43] offset:60 scale_offset
	s_wait_xcnt 0x0
	s_or_b32 exec_lo, exec_lo, s0
	s_and_saveexec_b32 s0, s15
	s_cbranch_execz .LBB1_167
.LBB1_190:
	scratch_load_b32 v0, off, off offset:132 ; 4-byte Folded Reload
	s_wait_loadcnt_dscnt 0x3
	global_store_b32 v0, v34, s[40:41] offset:64 scale_offset
	s_wait_dscnt 0x2
	global_store_b32 v0, v38, s[42:43] offset:64 scale_offset
	s_wait_xcnt 0x0
	s_or_b32 exec_lo, exec_lo, s0
	s_and_saveexec_b32 s0, s16
	s_cbranch_execz .LBB1_168
.LBB1_191:
	scratch_load_b32 v0, off, off offset:132 ; 4-byte Folded Reload
	s_wait_loadcnt_dscnt 0x3
	global_store_b32 v0, v35, s[40:41] offset:68 scale_offset
	s_wait_dscnt 0x2
	global_store_b32 v0, v39, s[42:43] offset:68 scale_offset
	s_wait_xcnt 0x0
	s_or_b32 exec_lo, exec_lo, s0
	s_and_saveexec_b32 s0, s17
	s_cbranch_execz .LBB1_169
.LBB1_192:
	scratch_load_b32 v0, off, off offset:132 ; 4-byte Folded Reload
	s_wait_loadcnt_dscnt 0x3
	global_store_b32 v0, v36, s[40:41] offset:72 scale_offset
	s_wait_dscnt 0x2
	global_store_b32 v0, v40, s[42:43] offset:72 scale_offset
	s_wait_xcnt 0x0
	s_or_b32 exec_lo, exec_lo, s0
	s_and_saveexec_b32 s0, s18
	s_cbranch_execz .LBB1_170
.LBB1_193:
	scratch_load_b32 v0, off, off offset:132 ; 4-byte Folded Reload
	s_wait_loadcnt_dscnt 0x3
	global_store_b32 v0, v37, s[40:41] offset:76 scale_offset
	s_wait_dscnt 0x2
	global_store_b32 v0, v41, s[42:43] offset:76 scale_offset
	s_wait_xcnt 0x0
	s_or_b32 exec_lo, exec_lo, s0
	s_and_saveexec_b32 s0, s19
	s_cbranch_execz .LBB1_171
.LBB1_194:
	scratch_load_b32 v0, off, off offset:132 ; 4-byte Folded Reload
	s_wait_loadcnt_dscnt 0x1
	global_store_b32 v0, v42, s[40:41] offset:80 scale_offset
	s_wait_dscnt 0x0
	global_store_b32 v0, v46, s[42:43] offset:80 scale_offset
	s_wait_xcnt 0x0
	s_or_b32 exec_lo, exec_lo, s0
	s_and_saveexec_b32 s0, s20
	s_cbranch_execz .LBB1_172
.LBB1_195:
	scratch_load_b32 v0, off, off offset:132 ; 4-byte Folded Reload
	s_wait_loadcnt_dscnt 0x1
	global_store_b32 v0, v43, s[40:41] offset:84 scale_offset
	s_wait_dscnt 0x0
	global_store_b32 v0, v47, s[42:43] offset:84 scale_offset
	s_wait_xcnt 0x0
	s_or_b32 exec_lo, exec_lo, s0
	s_and_saveexec_b32 s0, s21
	s_cbranch_execz .LBB1_173
.LBB1_196:
	scratch_load_b32 v0, off, off offset:132 ; 4-byte Folded Reload
	s_wait_loadcnt_dscnt 0x1
	global_store_b32 v0, v44, s[40:41] offset:88 scale_offset
	s_wait_dscnt 0x0
	global_store_b32 v0, v48, s[42:43] offset:88 scale_offset
	s_wait_xcnt 0x0
	s_or_b32 exec_lo, exec_lo, s0
	s_and_saveexec_b32 s0, s22
	s_cbranch_execz .LBB1_1
.LBB1_197:
	scratch_load_b32 v0, off, off offset:132 th:TH_LOAD_LU ; 4-byte Folded Reload
	s_wait_loadcnt_dscnt 0x1
	global_store_b32 v0, v45, s[40:41] offset:92 scale_offset
	s_wait_dscnt 0x0
	global_store_b32 v0, v49, s[42:43] offset:92 scale_offset
	s_sendmsg sendmsg(MSG_DEALLOC_VGPRS)
	s_endpgm
	.section	.rodata,"a",@progbits
	.p2align	6, 0x0
	.amdhsa_kernel SortSinglePassKVKernel
		.amdhsa_group_segment_fixed_size 29744
		.amdhsa_private_segment_fixed_size 140
		.amdhsa_kernarg_size 44
		.amdhsa_user_sgpr_count 2
		.amdhsa_user_sgpr_dispatch_ptr 0
		.amdhsa_user_sgpr_queue_ptr 0
		.amdhsa_user_sgpr_kernarg_segment_ptr 1
		.amdhsa_user_sgpr_dispatch_id 0
		.amdhsa_user_sgpr_kernarg_preload_length 0
		.amdhsa_user_sgpr_kernarg_preload_offset 0
		.amdhsa_user_sgpr_private_segment_size 0
		.amdhsa_wavefront_size32 1
		.amdhsa_uses_dynamic_stack 0
		.amdhsa_enable_private_segment 1
		.amdhsa_system_sgpr_workgroup_id_x 1
		.amdhsa_system_sgpr_workgroup_id_y 0
		.amdhsa_system_sgpr_workgroup_id_z 0
		.amdhsa_system_sgpr_workgroup_info 0
		.amdhsa_system_vgpr_workitem_id 0
		.amdhsa_next_free_vgpr 128
		.amdhsa_next_free_sgpr 47
		.amdhsa_named_barrier_count 0
		.amdhsa_reserve_vcc 1
		.amdhsa_float_round_mode_32 0
		.amdhsa_float_round_mode_16_64 0
		.amdhsa_float_denorm_mode_32 3
		.amdhsa_float_denorm_mode_16_64 3
		.amdhsa_fp16_overflow 0
		.amdhsa_memory_ordered 1
		.amdhsa_forward_progress 1
		.amdhsa_inst_pref_size 132
		.amdhsa_round_robin_scheduling 0
		.amdhsa_exception_fp_ieee_invalid_op 0
		.amdhsa_exception_fp_denorm_src 0
		.amdhsa_exception_fp_ieee_div_zero 0
		.amdhsa_exception_fp_ieee_overflow 0
		.amdhsa_exception_fp_ieee_underflow 0
		.amdhsa_exception_fp_ieee_inexact 0
		.amdhsa_exception_int_div_zero 0
	.end_amdhsa_kernel
	.text
.Lfunc_end1:
	.size	SortSinglePassKVKernel, .Lfunc_end1-SortSinglePassKVKernel
                                        ; -- End function
	.set SortSinglePassKVKernel.num_vgpr, 128
	.set SortSinglePassKVKernel.num_agpr, 0
	.set SortSinglePassKVKernel.numbered_sgpr, 47
	.set SortSinglePassKVKernel.num_named_barrier, 0
	.set SortSinglePassKVKernel.private_seg_size, 140
	.set SortSinglePassKVKernel.uses_vcc, 1
	.set SortSinglePassKVKernel.uses_flat_scratch, 1
	.set SortSinglePassKVKernel.has_dyn_sized_stack, 0
	.set SortSinglePassKVKernel.has_recursion, 0
	.set SortSinglePassKVKernel.has_indirect_call, 0
	.section	.AMDGPU.csdata,"",@progbits
; Kernel info:
; codeLenInByte = 16892
; TotalNumSgprs: 49
; NumVgprs: 128
; ScratchSize: 140
; MemoryBound: 0
; FloatMode: 240
; IeeeMode: 1
; LDSByteSize: 29744 bytes/workgroup (compile time only)
; SGPRBlocks: 0
; VGPRBlocks: 7
; NumSGPRsForWavesPerEU: 49
; NumVGPRsForWavesPerEU: 128
; NamedBarCnt: 0
; Occupancy: 8
; WaveLimiterHint : 0
; COMPUTE_PGM_RSRC2:SCRATCH_EN: 1
; COMPUTE_PGM_RSRC2:USER_SGPR: 2
; COMPUTE_PGM_RSRC2:TRAP_HANDLER: 0
; COMPUTE_PGM_RSRC2:TGID_X_EN: 1
; COMPUTE_PGM_RSRC2:TGID_Y_EN: 0
; COMPUTE_PGM_RSRC2:TGID_Z_EN: 0
; COMPUTE_PGM_RSRC2:TIDIG_COMP_CNT: 0
	.text
	.protected	GHistogram              ; -- Begin function GHistogram
	.globl	GHistogram
	.p2align	8
	.type	GHistogram,@function
GHistogram:                             ; @GHistogram
; %bb.0:
	v_cmp_gt_u32_e64 s2, 0x100, v0
	v_lshlrev_b32_e32 v1, 2, v0
	s_and_saveexec_b32 s3, s2
	s_cbranch_execz .LBB2_2
; %bb.1:
	v_mov_b32_e32 v2, 0
	ds_store_2addr_stride64_b32 v1, v2, v2 offset1:4
	ds_store_2addr_stride64_b32 v1, v2, v2 offset0:8 offset1:12
.LBB2_2:
	s_or_b32 exec_lo, exec_lo, s3
	s_clause 0x2
	s_load_b96 s[4:6], s[0:1], 0x0
	s_load_b32 s7, s[0:1], 0x18
	s_load_b64 s[8:9], s[0:1], 0x20
	v_cmp_eq_u32_e64 s3, 0, v0
	v_dual_mov_b32 v3, -1 :: v_dual_lshlrev_b32 v2, 3, v0
	v_mov_b32_e32 v4, 0
	s_wait_kmcnt 0x0
	s_add_co_i32 s12, s6, 0x7ff
	s_add_co_i32 s10, s7, 8
	;; [unrolled: 1-line block ×3, first 2 shown]
	s_lshr_b32 s12, s12, 11
	s_add_co_i32 s13, s7, 24
	s_branch .LBB2_5
.LBB2_3:                                ;   in Loop: Header=BB2_5 Depth=1
	s_or_b32 exec_lo, exec_lo, s14
	s_mov_b32 s14, 0
	s_wait_dscnt 0x0
	s_barrier_signal -1
	s_barrier_wait -1
.LBB2_4:                                ;   in Loop: Header=BB2_5 Depth=1
	s_and_b32 vcc_lo, exec_lo, s14
	s_cbranch_vccnz .LBB2_24
.LBB2_5:                                ; =>This Inner Loop Header: Depth=1
	s_and_saveexec_b32 s14, s3
	s_cbranch_execz .LBB2_7
; %bb.6:                                ;   in Loop: Header=BB2_5 Depth=1
	global_atomic_inc_u32 v5, v4, v3, s[8:9] th:TH_ATOMIC_RETURN scope:SCOPE_DEV
	s_wait_loadcnt 0x0
	ds_store_b32 v4, v5 offset:4096
.LBB2_7:                                ;   in Loop: Header=BB2_5 Depth=1
	s_or_b32 exec_lo, exec_lo, s14
	s_wait_dscnt 0x0
	s_barrier_signal -1
	s_barrier_wait -1
	ds_load_b32 v5, v4 offset:4096
	s_mov_b32 s14, -1
	s_wait_dscnt 0x0
	v_cmp_le_u32_e32 vcc_lo, s12, v5
	s_cbranch_vccnz .LBB2_4
; %bb.8:                                ;   in Loop: Header=BB2_5 Depth=1
	v_lshl_add_u32 v5, v5, 11, v2
	s_mov_b32 s14, exec_lo
	s_delay_alu instid0(VALU_DEP_1)
	v_cmpx_gt_u32_e64 s6, v5
	s_cbranch_execz .LBB2_10
; %bb.9:                                ;   in Loop: Header=BB2_5 Depth=1
	global_load_b32 v6, v5, s[4:5] scale_offset
	s_wait_loadcnt 0x0
	v_bfe_u32 v7, v6, s7, 8
	v_bfe_u32 v8, v6, s10, 8
	;; [unrolled: 1-line block ×4, first 2 shown]
	s_delay_alu instid0(VALU_DEP_3) | instskip(NEXT) | instid1(VALU_DEP_2)
	v_dual_lshlrev_b32 v7, 2, v7 :: v_dual_lshlrev_b32 v8, 2, v8
	v_dual_lshlrev_b32 v9, 2, v9 :: v_dual_lshlrev_b32 v6, 2, v6
	ds_inc_u32 v7, v3
	ds_inc_u32 v8, v3 offset:1024
	ds_inc_u32 v9, v3 offset:2048
	;; [unrolled: 1-line block ×3, first 2 shown]
.LBB2_10:                               ;   in Loop: Header=BB2_5 Depth=1
	s_or_b32 exec_lo, exec_lo, s14
	v_or_b32_e32 v6, 1, v5
	s_mov_b32 s14, exec_lo
	s_delay_alu instid0(VALU_DEP_1)
	v_cmpx_gt_u32_e64 s6, v6
	s_cbranch_execz .LBB2_12
; %bb.11:                               ;   in Loop: Header=BB2_5 Depth=1
	global_load_b32 v6, v5, s[4:5] offset:4 scale_offset
	s_wait_loadcnt 0x0
	v_bfe_u32 v7, v6, s7, 8
	v_bfe_u32 v8, v6, s10, 8
	v_bfe_u32 v9, v6, s11, 8
	v_bfe_u32 v6, v6, s13, 8
	s_delay_alu instid0(VALU_DEP_3) | instskip(NEXT) | instid1(VALU_DEP_2)
	v_dual_lshlrev_b32 v7, 2, v7 :: v_dual_lshlrev_b32 v8, 2, v8
	v_dual_lshlrev_b32 v9, 2, v9 :: v_dual_lshlrev_b32 v6, 2, v6
	ds_inc_u32 v7, v3
	ds_inc_u32 v8, v3 offset:1024
	ds_inc_u32 v9, v3 offset:2048
	ds_inc_u32 v6, v3 offset:3072
.LBB2_12:                               ;   in Loop: Header=BB2_5 Depth=1
	s_or_b32 exec_lo, exec_lo, s14
	v_or_b32_e32 v6, 2, v5
	s_mov_b32 s14, exec_lo
	s_delay_alu instid0(VALU_DEP_1)
	v_cmpx_gt_u32_e64 s6, v6
	s_cbranch_execz .LBB2_14
; %bb.13:                               ;   in Loop: Header=BB2_5 Depth=1
	global_load_b32 v6, v5, s[4:5] offset:8 scale_offset
	s_wait_loadcnt 0x0
	v_bfe_u32 v7, v6, s7, 8
	v_bfe_u32 v8, v6, s10, 8
	v_bfe_u32 v9, v6, s11, 8
	v_bfe_u32 v6, v6, s13, 8
	s_delay_alu instid0(VALU_DEP_3) | instskip(NEXT) | instid1(VALU_DEP_2)
	v_dual_lshlrev_b32 v7, 2, v7 :: v_dual_lshlrev_b32 v8, 2, v8
	v_dual_lshlrev_b32 v9, 2, v9 :: v_dual_lshlrev_b32 v6, 2, v6
	ds_inc_u32 v7, v3
	ds_inc_u32 v8, v3 offset:1024
	ds_inc_u32 v9, v3 offset:2048
	ds_inc_u32 v6, v3 offset:3072
.LBB2_14:                               ;   in Loop: Header=BB2_5 Depth=1
	;; [unrolled: 21-line block ×6, first 2 shown]
	s_or_b32 exec_lo, exec_lo, s14
	v_or_b32_e32 v6, 7, v5
	s_mov_b32 s14, exec_lo
	s_delay_alu instid0(VALU_DEP_1)
	v_cmpx_gt_u32_e64 s6, v6
	s_cbranch_execz .LBB2_3
; %bb.23:                               ;   in Loop: Header=BB2_5 Depth=1
	global_load_b32 v5, v5, s[4:5] offset:28 scale_offset
	s_wait_loadcnt 0x0
	v_bfe_u32 v6, v5, s7, 8
	v_bfe_u32 v7, v5, s10, 8
	;; [unrolled: 1-line block ×4, first 2 shown]
	s_delay_alu instid0(VALU_DEP_3) | instskip(NEXT) | instid1(VALU_DEP_2)
	v_dual_lshlrev_b32 v6, 2, v6 :: v_dual_lshlrev_b32 v7, 2, v7
	v_dual_lshlrev_b32 v8, 2, v8 :: v_dual_lshlrev_b32 v5, 2, v5
	ds_inc_u32 v6, v3
	ds_inc_u32 v7, v3 offset:1024
	ds_inc_u32 v8, v3 offset:2048
	;; [unrolled: 1-line block ×3, first 2 shown]
	s_branch .LBB2_3
.LBB2_24:
	v_cmp_gt_u32_e32 vcc_lo, 0x100, v0
	v_mov_b32_e32 v2, 0
	s_and_saveexec_b32 s3, vcc_lo
; %bb.25:
	ds_load_b32 v2, v1
; %bb.26:
	s_or_b32 exec_lo, exec_lo, s3
	s_wait_dscnt 0x0
	v_dual_mov_b32 v3, v2 :: v_dual_add_nc_u32 v4, 0xffffff00, v0
	s_delay_alu instid0(VALU_DEP_1)
	v_cmp_lt_u32_e64 s4, 0xffffff00, v4
	s_and_saveexec_b32 s3, s4
	s_cbranch_execz .LBB2_28
; %bb.27:
	v_add_nc_u32_e32 v3, -4, v1
	ds_load_b32 v3, v3
	s_wait_dscnt 0x0
	v_add_nc_u32_e32 v3, v3, v2
.LBB2_28:
	s_or_b32 exec_lo, exec_lo, s3
	s_barrier_signal -1
	s_barrier_wait -1
	s_and_saveexec_b32 s3, vcc_lo
; %bb.29:
	ds_store_b32 v1, v3
; %bb.30:
	s_or_b32 exec_lo, exec_lo, s3
	v_cmp_lt_u32_e64 s3, 0xffffff01, v4
	s_wait_dscnt 0x0
	s_barrier_signal -1
	s_barrier_wait -1
	s_and_saveexec_b32 s5, s3
	s_cbranch_execz .LBB2_32
; %bb.31:
	v_add_nc_u32_e32 v5, -8, v1
	ds_load_b32 v5, v5
	s_wait_dscnt 0x0
	v_add_nc_u32_e32 v3, v5, v3
.LBB2_32:
	s_or_b32 exec_lo, exec_lo, s5
	s_barrier_signal -1
	s_barrier_wait -1
	s_and_saveexec_b32 s5, vcc_lo
; %bb.33:
	ds_store_b32 v1, v3
; %bb.34:
	s_or_b32 exec_lo, exec_lo, s5
	v_cmp_lt_u32_e64 s5, 0xffffff03, v4
	s_wait_dscnt 0x0
	s_barrier_signal -1
	s_barrier_wait -1
	;; [unrolled: 20-line block ×3, first 2 shown]
	s_and_saveexec_b32 s7, s6
	s_cbranch_execz .LBB2_40
; %bb.39:
	v_subrev_nc_u32_e32 v5, 32, v1
	ds_load_b32 v5, v5
	s_wait_dscnt 0x0
	v_add_nc_u32_e32 v3, v5, v3
.LBB2_40:
	s_or_b32 exec_lo, exec_lo, s7
	s_barrier_signal -1
	s_barrier_wait -1
	s_and_saveexec_b32 s7, vcc_lo
; %bb.41:
	ds_store_b32 v1, v3
; %bb.42:
	s_or_b32 exec_lo, exec_lo, s7
	v_cmp_lt_u32_e64 s7, 0xffffff0f, v4
	s_wait_dscnt 0x0
	s_barrier_signal -1
	s_barrier_wait -1
	s_and_saveexec_b32 s8, s7
	s_cbranch_execz .LBB2_44
; %bb.43:
	v_subrev_nc_u32_e32 v5, 64, v1
	ds_load_b32 v5, v5
	s_wait_dscnt 0x0
	v_add_nc_u32_e32 v3, v5, v3
.LBB2_44:
	s_or_b32 exec_lo, exec_lo, s8
	s_barrier_signal -1
	s_barrier_wait -1
	s_and_saveexec_b32 s8, vcc_lo
; %bb.45:
	ds_store_b32 v1, v3
; %bb.46:
	s_or_b32 exec_lo, exec_lo, s8
	v_cmp_lt_u32_e64 s8, 0xffffff1f, v4
	s_wait_dscnt 0x0
	s_barrier_signal -1
	s_barrier_wait -1
	s_and_saveexec_b32 s9, s8
	s_cbranch_execz .LBB2_48
; %bb.47:
	v_add_nc_u32_e32 v5, 0xffffff80, v1
	ds_load_b32 v5, v5
	s_wait_dscnt 0x0
	v_add_nc_u32_e32 v3, v5, v3
.LBB2_48:
	s_or_b32 exec_lo, exec_lo, s9
	s_barrier_signal -1
	s_barrier_wait -1
	s_and_saveexec_b32 s9, vcc_lo
; %bb.49:
	ds_store_b32 v1, v3
; %bb.50:
	s_or_b32 exec_lo, exec_lo, s9
	v_cmp_lt_u32_e64 s9, 0xffffff3f, v4
	s_wait_dscnt 0x0
	s_barrier_signal -1
	s_barrier_wait -1
	s_and_saveexec_b32 s10, s9
	s_cbranch_execz .LBB2_52
; %bb.51:
	v_add_nc_u32_e32 v4, 0xffffff00, v1
	ds_load_b32 v4, v4
	s_wait_dscnt 0x0
	v_add_nc_u32_e32 v3, v4, v3
.LBB2_52:
	s_or_b32 exec_lo, exec_lo, s10
	s_barrier_signal -1
	s_barrier_wait -1
	s_and_saveexec_b32 s10, vcc_lo
; %bb.53:
	ds_store_b32 v1, v3
; %bb.54:
	s_or_b32 exec_lo, exec_lo, s10
	v_and_b32_e32 v4, 0x380, v0
	s_wait_dscnt 0x0
	s_barrier_signal -1
	s_barrier_wait -1
	s_delay_alu instid0(VALU_DEP_1)
	v_cmp_eq_u32_e64 s10, 0x80, v4
	s_and_saveexec_b32 s11, s10
	s_cbranch_execz .LBB2_56
; %bb.55:
	v_add_nc_u32_e32 v4, 0xfffffe00, v1
	ds_load_b32 v4, v4
	s_wait_dscnt 0x0
	v_add_nc_u32_e32 v3, v4, v3
.LBB2_56:
	s_or_b32 exec_lo, exec_lo, s11
	s_barrier_signal -1
	s_barrier_wait -1
	s_and_saveexec_b32 s11, vcc_lo
; %bb.57:
	ds_store_b32 v1, v3
; %bb.58:
	s_or_b32 exec_lo, exec_lo, s11
	s_wait_dscnt 0x0
	s_barrier_signal -1
	s_barrier_wait -1
	s_barrier_signal -1
	s_barrier_wait -1
	s_and_saveexec_b32 s11, vcc_lo
; %bb.59:
	v_sub_nc_u32_e32 v2, v3, v2
	ds_store_b32 v1, v2
; %bb.60:
	s_or_b32 exec_lo, exec_lo, s11
	v_mov_b32_e32 v2, 0
	s_wait_dscnt 0x0
	s_barrier_signal -1
	s_barrier_wait -1
	s_and_saveexec_b32 s11, vcc_lo
; %bb.61:
	ds_load_b32 v2, v1 offset:1024
; %bb.62:
	s_or_b32 exec_lo, exec_lo, s11
	s_wait_dscnt 0x0
	v_mov_b32_e32 v3, v2
	s_and_saveexec_b32 s11, s4
	s_cbranch_execz .LBB2_64
; %bb.63:
	ds_load_b32 v3, v1 offset:1020
	s_wait_dscnt 0x0
	v_add_nc_u32_e32 v3, v3, v2
.LBB2_64:
	s_or_b32 exec_lo, exec_lo, s11
	s_barrier_signal -1
	s_barrier_wait -1
	s_and_saveexec_b32 s11, vcc_lo
; %bb.65:
	ds_store_b32 v1, v3 offset:1024
; %bb.66:
	s_or_b32 exec_lo, exec_lo, s11
	s_wait_dscnt 0x0
	s_barrier_signal -1
	s_barrier_wait -1
	s_and_saveexec_b32 s11, s3
	s_cbranch_execz .LBB2_68
; %bb.67:
	ds_load_b32 v4, v1 offset:1016
	s_wait_dscnt 0x0
	v_add_nc_u32_e32 v3, v4, v3
.LBB2_68:
	s_or_b32 exec_lo, exec_lo, s11
	s_barrier_signal -1
	s_barrier_wait -1
	s_and_saveexec_b32 s11, vcc_lo
; %bb.69:
	ds_store_b32 v1, v3 offset:1024
; %bb.70:
	s_or_b32 exec_lo, exec_lo, s11
	s_wait_dscnt 0x0
	s_barrier_signal -1
	s_barrier_wait -1
	;; [unrolled: 18-line block ×8, first 2 shown]
	s_barrier_signal -1
	s_barrier_wait -1
	s_and_saveexec_b32 s11, vcc_lo
; %bb.95:
	v_sub_nc_u32_e32 v2, v3, v2
	ds_store_b32 v1, v2 offset:1024
; %bb.96:
	s_or_b32 exec_lo, exec_lo, s11
	v_mov_b32_e32 v2, 0
	s_wait_dscnt 0x0
	s_barrier_signal -1
	s_barrier_wait -1
	s_and_saveexec_b32 s11, vcc_lo
; %bb.97:
	ds_load_b32 v2, v1 offset:2048
; %bb.98:
	s_or_b32 exec_lo, exec_lo, s11
	s_wait_dscnt 0x0
	v_mov_b32_e32 v3, v2
	s_and_saveexec_b32 s11, s4
	s_cbranch_execz .LBB2_100
; %bb.99:
	ds_load_b32 v3, v1 offset:2044
	s_wait_dscnt 0x0
	v_add_nc_u32_e32 v3, v3, v2
.LBB2_100:
	s_or_b32 exec_lo, exec_lo, s11
	s_barrier_signal -1
	s_barrier_wait -1
	s_and_saveexec_b32 s11, vcc_lo
; %bb.101:
	ds_store_b32 v1, v3 offset:2048
; %bb.102:
	s_or_b32 exec_lo, exec_lo, s11
	s_wait_dscnt 0x0
	s_barrier_signal -1
	s_barrier_wait -1
	s_and_saveexec_b32 s11, s3
	s_cbranch_execz .LBB2_104
; %bb.103:
	ds_load_b32 v4, v1 offset:2040
	s_wait_dscnt 0x0
	v_add_nc_u32_e32 v3, v4, v3
.LBB2_104:
	s_or_b32 exec_lo, exec_lo, s11
	s_barrier_signal -1
	s_barrier_wait -1
	s_and_saveexec_b32 s11, vcc_lo
; %bb.105:
	ds_store_b32 v1, v3 offset:2048
; %bb.106:
	s_or_b32 exec_lo, exec_lo, s11
	s_wait_dscnt 0x0
	s_barrier_signal -1
	s_barrier_wait -1
	;; [unrolled: 18-line block ×8, first 2 shown]
	s_barrier_signal -1
	s_barrier_wait -1
	s_and_saveexec_b32 s11, vcc_lo
; %bb.131:
	v_sub_nc_u32_e32 v2, v3, v2
	ds_store_b32 v1, v2 offset:2048
; %bb.132:
	s_or_b32 exec_lo, exec_lo, s11
	v_mov_b32_e32 v2, 0
	s_wait_dscnt 0x0
	s_barrier_signal -1
	s_barrier_wait -1
	s_and_saveexec_b32 s11, vcc_lo
; %bb.133:
	ds_load_b32 v2, v1 offset:3072
; %bb.134:
	s_or_b32 exec_lo, exec_lo, s11
	s_wait_dscnt 0x0
	v_mov_b32_e32 v3, v2
	s_and_saveexec_b32 s11, s4
	s_cbranch_execz .LBB2_136
; %bb.135:
	ds_load_b32 v3, v1 offset:3068
	s_wait_dscnt 0x0
	v_add_nc_u32_e32 v3, v3, v2
.LBB2_136:
	s_or_b32 exec_lo, exec_lo, s11
	s_barrier_signal -1
	s_barrier_wait -1
	s_and_saveexec_b32 s4, vcc_lo
; %bb.137:
	ds_store_b32 v1, v3 offset:3072
; %bb.138:
	s_or_b32 exec_lo, exec_lo, s4
	s_wait_dscnt 0x0
	s_barrier_signal -1
	s_barrier_wait -1
	s_and_saveexec_b32 s4, s3
	s_cbranch_execz .LBB2_140
; %bb.139:
	ds_load_b32 v4, v1 offset:3064
	s_wait_dscnt 0x0
	v_add_nc_u32_e32 v3, v4, v3
.LBB2_140:
	s_or_b32 exec_lo, exec_lo, s4
	s_barrier_signal -1
	s_barrier_wait -1
	s_and_saveexec_b32 s3, vcc_lo
; %bb.141:
	ds_store_b32 v1, v3 offset:3072
; %bb.142:
	s_or_b32 exec_lo, exec_lo, s3
	s_wait_dscnt 0x0
	s_barrier_signal -1
	s_barrier_wait -1
	;; [unrolled: 18-line block ×8, first 2 shown]
	s_barrier_signal -1
	s_barrier_wait -1
	s_and_saveexec_b32 s3, vcc_lo
; %bb.167:
	v_sub_nc_u32_e32 v2, v3, v2
	ds_store_b32 v1, v2 offset:3072
; %bb.168:
	s_or_b32 exec_lo, exec_lo, s3
	s_wait_dscnt 0x0
	s_barrier_signal -1
	s_barrier_wait -1
	s_and_saveexec_b32 s3, s2
	s_cbranch_execz .LBB2_170
; %bb.169:
	s_load_b64 s[0:1], s[0:1], 0x10
	ds_load_b32 v2, v1
	s_wait_xcnt 0x0
	s_wait_dscnt 0x0
	s_wait_kmcnt 0x0
	global_atomic_add_u32 v0, v2, s[0:1] scale_offset scope:SCOPE_DEV
	s_wait_xcnt 0x0
	ds_load_b32 v2, v1 offset:1024
	s_wait_dscnt 0x0
	global_atomic_add_u32 v0, v2, s[0:1] offset:1024 scale_offset scope:SCOPE_DEV
	s_wait_xcnt 0x0
	ds_load_b32 v2, v1 offset:2048
	s_wait_dscnt 0x0
	global_atomic_add_u32 v0, v2, s[0:1] offset:2048 scale_offset scope:SCOPE_DEV
	ds_load_b32 v1, v1 offset:3072
	s_wait_xcnt 0x0
	s_wait_dscnt 0x0
	global_atomic_add_u32 v0, v1, s[0:1] offset:3072 scale_offset scope:SCOPE_DEV
.LBB2_170:
	s_endpgm
	.section	.rodata,"a",@progbits
	.p2align	6, 0x0
	.amdhsa_kernel GHistogram
		.amdhsa_group_segment_fixed_size 4100
		.amdhsa_private_segment_fixed_size 0
		.amdhsa_kernarg_size 40
		.amdhsa_user_sgpr_count 2
		.amdhsa_user_sgpr_dispatch_ptr 0
		.amdhsa_user_sgpr_queue_ptr 0
		.amdhsa_user_sgpr_kernarg_segment_ptr 1
		.amdhsa_user_sgpr_dispatch_id 0
		.amdhsa_user_sgpr_kernarg_preload_length 0
		.amdhsa_user_sgpr_kernarg_preload_offset 0
		.amdhsa_user_sgpr_private_segment_size 0
		.amdhsa_wavefront_size32 1
		.amdhsa_uses_dynamic_stack 0
		.amdhsa_enable_private_segment 0
		.amdhsa_system_sgpr_workgroup_id_x 1
		.amdhsa_system_sgpr_workgroup_id_y 0
		.amdhsa_system_sgpr_workgroup_id_z 0
		.amdhsa_system_sgpr_workgroup_info 0
		.amdhsa_system_vgpr_workitem_id 0
		.amdhsa_next_free_vgpr 10
		.amdhsa_next_free_sgpr 15
		.amdhsa_named_barrier_count 0
		.amdhsa_reserve_vcc 1
		.amdhsa_float_round_mode_32 0
		.amdhsa_float_round_mode_16_64 0
		.amdhsa_float_denorm_mode_32 3
		.amdhsa_float_denorm_mode_16_64 3
		.amdhsa_fp16_overflow 0
		.amdhsa_memory_ordered 1
		.amdhsa_forward_progress 1
		.amdhsa_inst_pref_size 31
		.amdhsa_round_robin_scheduling 0
		.amdhsa_exception_fp_ieee_invalid_op 0
		.amdhsa_exception_fp_denorm_src 0
		.amdhsa_exception_fp_ieee_div_zero 0
		.amdhsa_exception_fp_ieee_overflow 0
		.amdhsa_exception_fp_ieee_underflow 0
		.amdhsa_exception_fp_ieee_inexact 0
		.amdhsa_exception_int_div_zero 0
	.end_amdhsa_kernel
	.text
.Lfunc_end2:
	.size	GHistogram, .Lfunc_end2-GHistogram
                                        ; -- End function
	.set GHistogram.num_vgpr, 10
	.set GHistogram.num_agpr, 0
	.set GHistogram.numbered_sgpr, 15
	.set GHistogram.num_named_barrier, 0
	.set GHistogram.private_seg_size, 0
	.set GHistogram.uses_vcc, 1
	.set GHistogram.uses_flat_scratch, 0
	.set GHistogram.has_dyn_sized_stack, 0
	.set GHistogram.has_recursion, 0
	.set GHistogram.has_indirect_call, 0
	.section	.AMDGPU.csdata,"",@progbits
; Kernel info:
; codeLenInByte = 3948
; TotalNumSgprs: 17
; NumVgprs: 10
; ScratchSize: 0
; MemoryBound: 0
; FloatMode: 240
; IeeeMode: 1
; LDSByteSize: 4100 bytes/workgroup (compile time only)
; SGPRBlocks: 0
; VGPRBlocks: 0
; NumSGPRsForWavesPerEU: 17
; NumVGPRsForWavesPerEU: 10
; NamedBarCnt: 0
; Occupancy: 16
; WaveLimiterHint : 1
; COMPUTE_PGM_RSRC2:SCRATCH_EN: 0
; COMPUTE_PGM_RSRC2:USER_SGPR: 2
; COMPUTE_PGM_RSRC2:TRAP_HANDLER: 0
; COMPUTE_PGM_RSRC2:TGID_X_EN: 1
; COMPUTE_PGM_RSRC2:TGID_Y_EN: 0
; COMPUTE_PGM_RSRC2:TGID_Z_EN: 0
; COMPUTE_PGM_RSRC2:TIDIG_COMP_CNT: 0
	.text
	.protected	OnesweepReorderKey64    ; -- Begin function OnesweepReorderKey64
	.globl	OnesweepReorderKey64
	.p2align	8
	.type	OnesweepReorderKey64,@function
OnesweepReorderKey64:                   ; @OnesweepReorderKey64
; %bb.0:
	s_bfe_u32 s2, ttmp6, 0x4000c
	s_and_b32 s3, ttmp6, 15
	s_add_co_i32 s2, s2, 1
	s_getreg_b32 s4, hwreg(HW_REG_IB_STS2, 6, 4)
	s_mul_i32 s2, ttmp9, s2
	s_load_b32 s14, s[0:1], 0x10
	s_add_co_i32 s3, s3, s2
	s_cmp_eq_u32 s4, 0
	s_load_b128 s[4:7], s[0:1], 0x0
	v_dual_lshrrev_b32 v20, 5, v0 :: v_dual_mov_b32 v2, 0
	s_cselect_b32 s16, ttmp9, s3
	v_dual_lshlrev_b32 v45, 1, v0 :: v_dual_bitop2_b32 v44, 31, v0 bitop3:0x40
	s_lshl_b32 s15, s16, 12
	s_delay_alu instid0(VALU_DEP_2) | instskip(SKIP_3) | instid1(VALU_DEP_3)
	v_dual_mov_b32 v4, v2 :: v_dual_mov_b32 v5, v2
	v_lshl_or_b32 v1, v20, 9, s15
	v_dual_mov_b32 v3, v2 :: v_dual_mov_b32 v6, v2
	v_dual_mov_b32 v7, v2 :: v_dual_mov_b32 v8, v2
	v_dual_mov_b32 v9, v2 :: v_dual_bitop2_b32 v34, v1, v44 bitop3:0x54
	v_dual_mov_b32 v10, v2 :: v_dual_mov_b32 v11, v2
	v_dual_mov_b32 v12, v2 :: v_dual_mov_b32 v13, v2
	;; [unrolled: 1-line block ×4, first 2 shown]
	s_mov_b32 s2, exec_lo
	ds_store_b16 v45, v2 offset:512
	ds_store_b16 v45, v2 offset:1024
	;; [unrolled: 1-line block ×8, first 2 shown]
	s_wait_dscnt 0x0
	s_barrier_signal -1
	s_barrier_wait -1
	s_wait_kmcnt 0x0
	v_cmpx_gt_u32_e64 s14, v34
	s_cbranch_execz .LBB3_2
; %bb.1:
	global_load_b32 v4, v34, s[4:5] scale_offset
	v_dual_mov_b32 v5, v2 :: v_dual_mov_b32 v6, v2
	v_dual_mov_b32 v17, v2 :: v_dual_mov_b32 v18, v2
	;; [unrolled: 1-line block ×7, first 2 shown]
	v_mov_b32_e32 v16, v2
	s_wait_loadcnt 0x0
	v_mov_b64_e32 v[2:3], v[4:5]
	v_mov_b64_e32 v[4:5], v[6:7]
	;; [unrolled: 1-line block ×8, first 2 shown]
.LBB3_2:
	s_or_b32 exec_lo, exec_lo, s2
	v_or_b32_e32 v18, 32, v34
	s_mov_b32 s2, exec_lo
	s_delay_alu instid0(VALU_DEP_1)
	v_cmpx_gt_u32_e64 s14, v18
	s_cbranch_execz .LBB3_4
; %bb.3:
	global_load_b32 v3, v34, s[4:5] offset:128 scale_offset
.LBB3_4:
	s_wait_xcnt 0x0
	s_or_b32 exec_lo, exec_lo, s2
	v_or_b32_e32 v18, 64, v34
	s_mov_b32 s2, exec_lo
	s_delay_alu instid0(VALU_DEP_1)
	v_cmpx_gt_u32_e64 s14, v18
	s_cbranch_execz .LBB3_6
; %bb.5:
	global_load_b32 v4, v34, s[4:5] offset:256 scale_offset
.LBB3_6:
	s_wait_xcnt 0x0
	;; [unrolled: 10-line block ×15, first 2 shown]
	s_or_b32 exec_lo, exec_lo, s2
	s_load_b64 s[12:13], s[0:1], 0x30
	v_lshlrev_b32_e64 v19, v44, -1
	v_dual_mov_b32 v18, 0 :: v_dual_lshlrev_b32 v46, 1, v20
	s_mov_b64 s[8:9], 0
	s_delay_alu instid0(VALU_DEP_2) | instskip(NEXT) | instid1(VALU_DEP_2)
	v_not_b32_e32 v35, v19
	v_dual_mov_b32 v19, v18 :: v_dual_mov_b32 v20, v18
	v_dual_mov_b32 v21, v18 :: v_dual_mov_b32 v22, v18
	;; [unrolled: 1-line block ×7, first 2 shown]
	v_mov_b32_e32 v33, v18
	s_wait_kmcnt 0x0
	s_lshl_b32 s2, s13, 3
	s_delay_alu instid0(SALU_CYCLE_1)
	s_add_co_i32 s12, s2, s12
	s_branch .LBB3_34
.LBB3_33:                               ;   in Loop: Header=BB3_34 Depth=1
	s_or_b32 exec_lo, exec_lo, s3
	v_bitop3_b32 v36, v36, s2, vcc_lo bitop3:0x48
	s_mov_b32 m0, s8
	s_add_nc_u64 s[8:9], s[8:9], 1
	s_wait_dscnt 0x0
	s_cmp_eq_u32 s8, 16
	v_bitop3_b32 v36, v36, v38, v37 bitop3:0x80
	v_and_b32_e32 v37, 0xffff, v40
	s_barrier_signal -1
	s_barrier_wait -1
	s_delay_alu instid0(VALU_DEP_2) | instskip(SKIP_1) | instid1(VALU_DEP_2)
	v_bitop3_b32 v36, v36, v41, v39 bitop3:0x80
	v_add_nc_u32_e32 v34, 32, v34
	v_bitop3_b32 v36, v36, v43, v42 bitop3:0x80
	s_delay_alu instid0(VALU_DEP_1) | instskip(NEXT) | instid1(VALU_DEP_1)
	v_bitop3_b32 v36, v36, v35, v47 bitop3:0x80
	v_bcnt_u32_b32 v36, v36, 0
	s_delay_alu instid0(VALU_DEP_1) | instskip(NEXT) | instid1(VALU_DEP_1)
	v_add_nc_u32_e32 v36, v36, v37
	v_movreld_b32_e32 v18, v36
	s_cbranch_scc1 .LBB3_36
.LBB3_34:                               ; =>This Inner Loop Header: Depth=1
	s_mov_b32 m0, s8
	s_wait_loadcnt 0x0
	v_movrels_b32_e32 v40, v2
	s_delay_alu instid0(VALU_DEP_1) | instskip(SKIP_2) | instid1(VALU_DEP_3)
	v_bfe_u32 v36, v40, s12, 1
	v_lshrrev_b32_e32 v42, s12, v40
	v_bfe_u32 v40, v40, s12, 8
	v_add_co_u32 v36, s2, v36, -1
	s_delay_alu instid0(VALU_DEP_1) | instskip(NEXT) | instid1(VALU_DEP_4)
	v_cndmask_b32_e64 v37, 0, 1, s2
	v_bfe_u32 v38, v42, 1, 1
	s_delay_alu instid0(VALU_DEP_2) | instskip(NEXT) | instid1(VALU_DEP_2)
	v_cmp_ne_u32_e32 vcc_lo, 0, v37
	v_add_co_u32 v37, s2, v38, -1
	s_delay_alu instid0(VALU_DEP_1) | instskip(SKIP_1) | instid1(VALU_DEP_2)
	v_cndmask_b32_e64 v38, 0, 1, s2
	v_xor_b32_e32 v48, vcc_lo, v36
	v_cmp_ne_u32_e64 s3, 0, v38
	s_delay_alu instid0(VALU_DEP_1) | instskip(SKIP_3) | instid1(VALU_DEP_3)
	v_xor_b32_e32 v37, s3, v37
	v_bfe_u32 v39, v42, 2, 1
	v_bfe_u32 v41, v42, 3, 1
	;; [unrolled: 1-line block ×3, first 2 shown]
	v_add_co_u32 v39, s2, v39, -1
	s_delay_alu instid0(VALU_DEP_1) | instskip(NEXT) | instid1(VALU_DEP_4)
	v_cndmask_b32_e64 v43, 0, 1, s2
	v_add_co_u32 v41, s2, v41, -1
	s_delay_alu instid0(VALU_DEP_1) | instskip(SKIP_1) | instid1(VALU_DEP_4)
	v_cndmask_b32_e64 v47, 0, 1, s2
	v_cmp_gt_u32_e64 s2, s14, v34
	v_cmp_ne_u32_e64 s4, 0, v43
	v_bfe_u32 v43, v42, 4, 1
	s_delay_alu instid0(VALU_DEP_4) | instskip(SKIP_1) | instid1(VALU_DEP_4)
	v_cmp_ne_u32_e64 s5, 0, v47
	v_bfe_u32 v47, v42, 5, 1
	v_xor_b32_e32 v38, s4, v39
	s_delay_alu instid0(VALU_DEP_4) | instskip(NEXT) | instid1(VALU_DEP_4)
	v_add_co_u32 v43, s3, v43, -1
	v_xor_b32_e32 v39, s5, v41
	v_bitop3_b32 v41, v48, v37, s2 bitop3:0x80
	v_cndmask_b32_e64 v48, 0, 1, s3
	v_add_co_u32 v47, s3, v47, -1
	s_delay_alu instid0(VALU_DEP_1) | instskip(NEXT) | instid1(VALU_DEP_3)
	v_cndmask_b32_e64 v49, 0, 1, s3
	v_cmp_ne_u32_e64 s3, 0, v48
	v_lshlrev_b32_e32 v48, 4, v40
	v_bitop3_b32 v51, v41, v39, v38 bitop3:0x80
	s_delay_alu instid0(VALU_DEP_4) | instskip(SKIP_1) | instid1(VALU_DEP_1)
	v_cmp_ne_u32_e64 s4, 0, v49
	v_add_co_u32 v49, s5, v50, -1
	v_cndmask_b32_e64 v50, 0, 1, s5
	v_xor_b32_e32 v41, s3, v43
	v_bfe_u32 v43, v42, 7, 1
	v_xor_b32_e32 v42, s4, v47
	v_cmp_lt_u32_e64 s4, 0x7f, v40
	v_cmp_ne_u32_e64 s3, 0, v50
	s_delay_alu instid0(VALU_DEP_4) | instskip(NEXT) | instid1(VALU_DEP_4)
	v_dual_add_nc_u32 v40, -1, v43 :: v_dual_bitop2_b32 v50, v46, v48 bitop3:0x54
	v_bitop3_b32 v51, v51, v42, v41 bitop3:0x80
	s_delay_alu instid0(VALU_DEP_3) | instskip(NEXT) | instid1(VALU_DEP_3)
	v_xor_b32_e32 v43, s3, v49
	v_xor_b32_e32 v47, s4, v40
	ds_load_u16 v40, v50 offset:512
	s_wait_dscnt 0x0
	s_barrier_signal -1
	s_barrier_wait -1
	v_bitop3_b32 v49, v51, v47, v43 bitop3:0x80
	s_delay_alu instid0(VALU_DEP_1) | instskip(SKIP_1) | instid1(VALU_DEP_2)
	v_ctz_i32_b32_e32 v50, v49
	v_cmp_ne_u32_e64 s3, 0, v49
	v_cmp_eq_u32_e64 s4, v50, v44
	s_and_b32 s4, s3, s4
	s_delay_alu instid0(SALU_CYCLE_1)
	s_and_saveexec_b32 s3, s4
	s_cbranch_execz .LBB3_33
; %bb.35:                               ;   in Loop: Header=BB3_34 Depth=1
	v_bcnt_u32_b32 v49, v49, v40
	v_add_nc_u32_e32 v48, v46, v48
	ds_store_b16 v48, v49 offset:512
	s_branch .LBB3_33
.LBB3_36:
	v_cmp_gt_u32_e32 vcc_lo, 0x100, v0
	s_barrier_signal -1
	s_barrier_wait -1
	s_and_saveexec_b32 s2, vcc_lo
	s_cbranch_execz .LBB3_38
; %bb.37:
	v_lshlrev_b32_e32 v38, 4, v0
	ds_load_2addr_b32 v[34:35], v38 offset0:130 offset1:131
	ds_load_2addr_b32 v[36:37], v38 offset0:128 offset1:129
	s_wait_dscnt 0x0
	v_pk_add_u16 v35, v37, v35
	v_pk_add_u16 v34, v36, v34
	s_delay_alu instid0(VALU_DEP_1) | instskip(NEXT) | instid1(VALU_DEP_1)
	v_pk_add_u16 v34, v34, v35
	v_lshrrev_b32_e32 v35, 16, v34
	s_delay_alu instid0(VALU_DEP_1)
	v_add_nc_u16 v34, v34, v35
	v_mad_i32_i24 v35, v0, -14, v38
	ds_store_b16 v35, v34
.LBB3_38:
	s_or_b32 exec_lo, exec_lo, s2
	s_clause 0x1
	s_load_b128 s[8:11], s[0:1], 0x18
	s_load_b64 s[4:5], s[0:1], 0x28
	s_wait_xcnt 0x0
	v_cmp_eq_u32_e64 s0, 0, v0
	s_cmp_gt_u32 s16, 0x3ff
	s_cselect_b32 s1, -1, 0
	s_delay_alu instid0(SALU_CYCLE_1) | instskip(NEXT) | instid1(SALU_CYCLE_1)
	s_and_b32 s1, s0, s1
	s_and_saveexec_b32 s2, s1
	s_cbranch_execz .LBB3_43
; %bb.39:
	v_mov_b32_e32 v34, 0
	s_branch .LBB3_41
.LBB3_40:                               ;   in Loop: Header=BB3_41 Depth=1
	s_wait_xcnt 0x0
	s_or_b32 exec_lo, exec_lo, s3
	s_wait_loadcnt 0x0
	v_readfirstlane_b32 s1, v35
	s_and_not1_b32 s1, s1, 31
	s_delay_alu instid0(SALU_CYCLE_1) | instskip(NEXT) | instid1(SALU_CYCLE_1)
	s_addk_co_i32 s1, 0x3c0
	s_cmp_le_u32 s1, s16
	s_cbranch_scc0 .LBB3_43
.LBB3_41:                               ; =>This Inner Loop Header: Depth=1
	v_mbcnt_lo_u32_b32 v35, exec_lo, 0
	s_delay_alu instid0(VALU_DEP_1)
	v_cmp_eq_u32_e64 s1, 0, v35
                                        ; implicit-def: $vgpr35
	s_and_saveexec_b32 s3, s1
	s_cbranch_execz .LBB3_40
; %bb.42:                               ;   in Loop: Header=BB3_41 Depth=1
	s_wait_kmcnt 0x0
	global_load_b32 v35, v34, s[4:5] scope:SCOPE_DEV
	s_branch .LBB3_40
.LBB3_43:
	s_or_b32 exec_lo, exec_lo, s2
	s_wait_dscnt 0x0
	s_barrier_signal -1
	s_barrier_wait -1
	s_and_saveexec_b32 s3, vcc_lo
	s_cbranch_execz .LBB3_51
; %bb.44:
	ds_load_u16 v34, v45
	s_and_b32 s17, s16, 0x3fffffff
	s_lshl_b32 s1, s16, 8
	s_or_b32 s2, s17, 2.0
	v_and_or_b32 v36, 0x3ff00, s1, v0
	v_mov_b32_e32 v35, s2
	v_lshl_or_b32 v37, s13, 8, v0
	v_dual_mov_b32 v39, 0 :: v_dual_mov_b32 v47, 0
	s_delay_alu instid0(VALU_DEP_4)
	v_lshlrev_b32_e32 v38, 3, v36
                                        ; implicit-def: $sgpr1
	s_wait_dscnt 0x0
	s_wait_kmcnt 0x0
	flat_store_b64 v36, v[34:35], s[10:11] scale_offset scope:SCOPE_SYS
	s_wait_storecnt 0x0
	global_load_b32 v35, v37, s[8:9] scale_offset
	s_wait_xcnt 0x0
	v_add_nc_u64_e32 v[36:37], s[10:11], v[38:39]
	s_mov_b32 s8, 0
	s_mov_b32 s9, s16
	s_branch .LBB3_46
.LBB3_45:                               ;   in Loop: Header=BB3_46 Depth=1
                                        ; implicit-def: $sgpr9
	s_and_b32 s2, exec_lo, s1
	s_delay_alu instid0(SALU_CYCLE_1) | instskip(NEXT) | instid1(SALU_CYCLE_1)
	s_or_b32 s8, s2, s8
	s_and_not1_b32 exec_lo, exec_lo, s8
	s_cbranch_execz .LBB3_50
.LBB3_46:                               ; =>This Loop Header: Depth=1
                                        ;     Child Loop BB3_48 Depth 2
	s_or_b32 s1, s1, exec_lo
	s_cmp_lt_i32 s9, 1
	s_cbranch_scc1 .LBB3_45
; %bb.47:                               ;   in Loop: Header=BB3_46 Depth=1
	s_add_co_i32 s9, s9, -1
	s_mov_b32 s13, 0
	s_lshl_b32 s1, s9, 8
	s_delay_alu instid0(SALU_CYCLE_1) | instskip(SKIP_1) | instid1(SALU_CYCLE_1)
	v_and_or_b32 v38, 0x3ff00, s1, v0
	s_sub_co_i32 s1, s16, s9
	s_cmp_eq_u32 s1, 64
	s_cselect_b32 s18, 2, 3
	s_delay_alu instid0(VALU_DEP_1) | instskip(NEXT) | instid1(VALU_DEP_1)
	v_lshlrev_b32_e32 v38, 3, v38
	v_add_nc_u64_e32 v[40:41], s[10:11], v[38:39]
.LBB3_48:                               ;   Parent Loop BB3_46 Depth=1
                                        ; =>  This Inner Loop Header: Depth=2
	flat_load_b64 v[42:43], v[40:41] scope:SCOPE_SYS
	s_wait_loadcnt_dscnt 0x0
	v_lshrrev_b32_e32 v38, 30, v43
	v_and_b32_e32 v43, 0x3fffffff, v43
	s_delay_alu instid0(VALU_DEP_2) | instskip(NEXT) | instid1(VALU_DEP_2)
	v_and_b32_e32 v48, s18, v38
	v_cmp_eq_u32_e64 s2, s9, v43
	s_delay_alu instid0(VALU_DEP_2) | instskip(SKIP_1) | instid1(SALU_CYCLE_1)
	v_cmp_ne_u32_e64 s1, 0, v48
	s_and_b32 s1, s1, s2
	s_and_b32 s1, exec_lo, s1
	s_delay_alu instid0(SALU_CYCLE_1) | instskip(NEXT) | instid1(SALU_CYCLE_1)
	s_or_b32 s13, s1, s13
	s_and_not1_b32 exec_lo, exec_lo, s13
	s_cbranch_execnz .LBB3_48
; %bb.49:                               ;   in Loop: Header=BB3_46 Depth=1
	s_or_b32 exec_lo, exec_lo, s13
	v_add_nc_u32_e32 v47, v47, v42
	v_cmp_eq_u32_e64 s1, 2, v38
	s_and_b32 s2, exec_lo, s1
	s_delay_alu instid0(SALU_CYCLE_1) | instskip(NEXT) | instid1(SALU_CYCLE_1)
	s_or_b32 s8, s2, s8
	s_and_not1_b32 exec_lo, exec_lo, s8
	s_cbranch_execnz .LBB3_46
.LBB3_50:
	s_or_b32 exec_lo, exec_lo, s8
	s_bitset1_b32 s17, 31
	s_delay_alu instid0(SALU_CYCLE_1)
	v_dual_mov_b32 v39, s17 :: v_dual_add_nc_u32 v38, v47, v34
	s_wait_loadcnt 0x0
	v_dual_add_nc_u32 v34, v47, v35 :: v_dual_lshlrev_b32 v35, 2, v0
	flat_store_b64 v[36:37], v[38:39] scope:SCOPE_SYS
	s_wait_storecnt 0x0
	ds_store_b32 v35, v34 offset:20480
.LBB3_51:
	s_wait_xcnt 0x0
	s_or_b32 exec_lo, exec_lo, s3
; %bb.52:
	s_wait_dscnt 0x0
	s_barrier_signal -1
	s_barrier_wait -1
	s_and_saveexec_b32 s1, s0
	s_cbranch_execz .LBB3_58
; %bb.53:
	v_mov_b32_e32 v34, 0
	s_branch .LBB3_55
.LBB3_54:                               ;   in Loop: Header=BB3_55 Depth=1
	s_wait_xcnt 0x0
	s_or_b32 exec_lo, exec_lo, s2
	s_wait_loadcnt 0x0
	v_readfirstlane_b32 s0, v35
	s_xor_b32 s0, s0, s16
	s_delay_alu instid0(SALU_CYCLE_1)
	s_cmp_gt_u32 s0, 31
	s_cbranch_scc0 .LBB3_57
.LBB3_55:                               ; =>This Inner Loop Header: Depth=1
	v_mbcnt_lo_u32_b32 v35, exec_lo, 0
	s_delay_alu instid0(VALU_DEP_1)
	v_cmp_eq_u32_e64 s0, 0, v35
                                        ; implicit-def: $vgpr35
	s_and_saveexec_b32 s2, s0
	s_cbranch_execz .LBB3_54
; %bb.56:                               ;   in Loop: Header=BB3_55 Depth=1
	s_wait_kmcnt 0x0
	global_load_b32 v35, v34, s[4:5] scope:SCOPE_DEV
	s_branch .LBB3_54
.LBB3_57:
	s_add_co_i32 s0, s14, 0xfff
	s_delay_alu instid0(SALU_CYCLE_1) | instskip(NEXT) | instid1(SALU_CYCLE_1)
	s_lshr_b32 s0, s0, 12
	s_add_co_i32 s0, s0, -1
	s_delay_alu instid0(SALU_CYCLE_1)
	v_dual_mov_b32 v34, 0 :: v_dual_mov_b32 v35, s0
	s_wait_kmcnt 0x0
	global_atomic_inc_u32 v34, v35, s[4:5] scope:SCOPE_DEV
.LBB3_58:
	s_wait_xcnt 0x0
	s_or_b32 exec_lo, exec_lo, s1
	v_cmp_gt_u32_e64 s0, 0x100, v0
	v_mov_b32_e32 v34, 0
	s_wait_storecnt 0x0
	s_barrier_signal -1
	s_barrier_wait -1
	s_and_saveexec_b32 s1, s0
; %bb.59:
	ds_load_u16 v34, v45
; %bb.60:
	s_or_b32 exec_lo, exec_lo, s1
	v_or_b32_e32 v36, 0xffffff00, v0
	s_wait_dscnt 0x0
	v_mov_b32_e32 v35, v34
	s_mov_b32 s2, exec_lo
	s_delay_alu instid0(VALU_DEP_2)
	v_cmpx_lt_u32_e32 0xffffff00, v36
	s_cbranch_execz .LBB3_62
; %bb.61:
	v_add_nc_u32_e32 v35, -2, v45
	ds_load_u16 v35, v35
	s_wait_dscnt 0x0
	v_add_nc_u16 v35, v35, v34
.LBB3_62:
	s_or_b32 exec_lo, exec_lo, s2
	s_barrier_signal -1
	s_barrier_wait -1
	s_and_saveexec_b32 s1, s0
; %bb.63:
	ds_store_b16 v45, v35
; %bb.64:
	s_or_b32 exec_lo, exec_lo, s1
	s_delay_alu instid0(SALU_CYCLE_1)
	s_mov_b32 s2, exec_lo
	s_wait_dscnt 0x0
	s_barrier_signal -1
	s_barrier_wait -1
	v_cmpx_lt_u32_e32 0xffffff01, v36
	s_cbranch_execz .LBB3_66
; %bb.65:
	v_add_nc_u32_e32 v37, -4, v45
	ds_load_u16 v37, v37
	s_wait_dscnt 0x0
	v_add_nc_u16 v35, v37, v35
.LBB3_66:
	s_or_b32 exec_lo, exec_lo, s2
	s_barrier_signal -1
	s_barrier_wait -1
	s_and_saveexec_b32 s1, s0
; %bb.67:
	ds_store_b16 v45, v35
; %bb.68:
	s_or_b32 exec_lo, exec_lo, s1
	s_delay_alu instid0(SALU_CYCLE_1)
	s_mov_b32 s2, exec_lo
	s_wait_dscnt 0x0
	s_barrier_signal -1
	s_barrier_wait -1
	;; [unrolled: 21-line block ×4, first 2 shown]
	v_cmpx_lt_u32_e32 0xffffff0f, v36
	s_cbranch_execz .LBB3_78
; %bb.77:
	v_subrev_nc_u32_e32 v37, 32, v45
	ds_load_u16 v37, v37
	s_wait_dscnt 0x0
	v_add_nc_u16 v35, v37, v35
.LBB3_78:
	s_or_b32 exec_lo, exec_lo, s2
	s_barrier_signal -1
	s_barrier_wait -1
	s_and_saveexec_b32 s1, s0
; %bb.79:
	ds_store_b16 v45, v35
; %bb.80:
	s_or_b32 exec_lo, exec_lo, s1
	s_delay_alu instid0(SALU_CYCLE_1)
	s_mov_b32 s2, exec_lo
	s_wait_dscnt 0x0
	s_barrier_signal -1
	s_barrier_wait -1
	v_cmpx_lt_u32_e32 0xffffff1f, v36
	s_cbranch_execz .LBB3_82
; %bb.81:
	v_subrev_nc_u32_e32 v37, 64, v45
	ds_load_u16 v37, v37
	s_wait_dscnt 0x0
	v_add_nc_u16 v35, v37, v35
.LBB3_82:
	s_or_b32 exec_lo, exec_lo, s2
	s_barrier_signal -1
	s_barrier_wait -1
	s_and_saveexec_b32 s1, s0
; %bb.83:
	ds_store_b16 v45, v35
; %bb.84:
	s_or_b32 exec_lo, exec_lo, s1
	s_delay_alu instid0(SALU_CYCLE_1)
	s_mov_b32 s2, exec_lo
	s_wait_dscnt 0x0
	s_barrier_signal -1
	s_barrier_wait -1
	v_cmpx_lt_u32_e32 0xffffff3f, v36
	s_cbranch_execz .LBB3_86
; %bb.85:
	v_add_nc_u32_e32 v36, 0xffffff80, v45
	ds_load_u16 v36, v36
	s_wait_dscnt 0x0
	v_add_nc_u16 v35, v36, v35
.LBB3_86:
	s_or_b32 exec_lo, exec_lo, s2
	s_barrier_signal -1
	s_barrier_wait -1
	s_and_saveexec_b32 s1, s0
; %bb.87:
	ds_store_b16 v45, v35
; %bb.88:
	s_or_b32 exec_lo, exec_lo, s1
	v_and_b32_e32 v36, 0x80, v0
	s_mov_b32 s2, exec_lo
	s_wait_dscnt 0x0
	s_barrier_signal -1
	s_barrier_wait -1
	v_cmpx_ne_u32_e32 0, v36
	s_cbranch_execz .LBB3_90
; %bb.89:
	v_add_nc_u32_e32 v36, 0xffffff00, v45
	ds_load_u16 v36, v36
	s_wait_dscnt 0x0
	v_add_nc_u16 v35, v36, v35
.LBB3_90:
	s_or_b32 exec_lo, exec_lo, s2
	s_barrier_signal -1
	s_barrier_wait -1
	s_and_saveexec_b32 s1, s0
; %bb.91:
	ds_store_b16 v45, v35
; %bb.92:
	s_or_b32 exec_lo, exec_lo, s1
	s_wait_dscnt 0x0
	s_barrier_signal -1
	s_barrier_wait -1
	s_barrier_signal -1
	s_barrier_wait -1
	s_and_saveexec_b32 s1, s0
; %bb.93:
	v_sub_nc_u16 v34, v35, v34
	ds_store_b16 v45, v34
; %bb.94:
	s_or_b32 exec_lo, exec_lo, s1
	v_lshlrev_b32_e32 v34, 2, v0
	s_wait_dscnt 0x0
	s_barrier_signal -1
	s_barrier_wait -1
	s_and_saveexec_b32 s0, vcc_lo
	s_cbranch_execz .LBB3_96
; %bb.95:
	v_mad_u32_u24 v35, v0, 14, v45
	ds_load_u16 v39, v45
	ds_load_2addr_b32 v[36:37], v35 offset0:128 offset1:129
	s_wait_dscnt 0x1
	v_and_b32_e32 v43, 0xffff, v39
	s_wait_dscnt 0x0
	v_and_b32_e32 v45, 0xffff, v36
	v_lshlrev_b32_e32 v40, 2, v0
	v_lshrrev_b32_e32 v36, 16, v36
	v_and_b32_e32 v47, 0xffff, v37
	s_delay_alu instid0(VALU_DEP_4) | instskip(SKIP_4) | instid1(VALU_DEP_1)
	v_dual_lshrrev_b32 v37, 16, v37 :: v_dual_add_nc_u32 v45, v45, v43
	ds_load_b32 v38, v40 offset:20480
	ds_load_b32 v41, v35 offset:520
	ds_load_u16 v42, v35 offset:524
	v_add_nc_u32_e32 v36, v45, v36
	v_add_nc_u32_e32 v47, v36, v47
	s_wait_dscnt 0x1
	v_dual_sub_nc_u32 v43, v38, v43 :: v_dual_lshrrev_b32 v48, 16, v41
	s_delay_alu instid0(VALU_DEP_2) | instskip(SKIP_1) | instid1(VALU_DEP_2)
	v_add_nc_u32_e32 v37, v47, v37
	v_perm_b32 v36, v36, v45, 0x5040100
	v_add_nc_u16 v41, v41, v37
	v_perm_b32 v37, v37, v47, 0x5040100
	s_delay_alu instid0(VALU_DEP_2) | instskip(NEXT) | instid1(VALU_DEP_1)
	v_add_nc_u16 v48, v48, v41
	v_perm_b32 v38, v48, v41, 0x5040100
	s_wait_dscnt 0x0
	v_add_nc_u16 v41, v42, v48
	ds_store_b32 v40, v43 offset:20480
	ds_store_b16 v35, v39 offset:512
	ds_store_b96 v35, v[36:38] offset:514
	ds_store_b16 v35, v41 offset:526
.LBB3_96:
	s_or_b32 exec_lo, exec_lo, s0
	v_dual_lshrrev_b32 v35, s12, v2 :: v_dual_lshrrev_b32 v36, s12, v3
	v_dual_lshrrev_b32 v37, s12, v4 :: v_dual_lshrrev_b32 v38, s12, v5
	;; [unrolled: 1-line block ×3, first 2 shown]
	s_delay_alu instid0(VALU_DEP_3) | instskip(NEXT) | instid1(VALU_DEP_3)
	v_dual_lshlrev_b32 v35, 4, v35 :: v_dual_lshlrev_b32 v36, 4, v36
	v_dual_lshlrev_b32 v37, 4, v37 :: v_dual_lshlrev_b32 v38, 4, v38
	v_dual_lshrrev_b32 v41, s12, v8 :: v_dual_lshrrev_b32 v42, s12, v9
	s_delay_alu instid0(VALU_DEP_3) | instskip(NEXT) | instid1(VALU_DEP_4)
	v_and_or_b32 v35, 0xff0, v35, v46
	v_and_or_b32 v36, 0xff0, v36, v46
	s_delay_alu instid0(VALU_DEP_4)
	v_and_or_b32 v37, 0xff0, v37, v46
	v_and_or_b32 v38, 0xff0, v38, v46
	s_wait_dscnt 0x0
	s_barrier_signal -1
	s_barrier_wait -1
	ds_load_u16 v35, v35 offset:512
	ds_load_u16 v36, v36 offset:512
	v_dual_lshlrev_b32 v39, 4, v39 :: v_dual_lshlrev_b32 v40, 4, v40
	ds_load_u16 v37, v37 offset:512
	ds_load_u16 v38, v38 offset:512
	v_dual_lshlrev_b32 v41, 4, v41 :: v_dual_lshlrev_b32 v42, 4, v42
	v_and_or_b32 v39, 0xff0, v39, v46
	v_and_or_b32 v40, 0xff0, v40, v46
	v_dual_lshrrev_b32 v43, s12, v10 :: v_dual_lshrrev_b32 v45, s12, v11
	s_delay_alu instid0(VALU_DEP_4)
	v_and_or_b32 v41, 0xff0, v41, v46
	v_and_or_b32 v42, 0xff0, v42, v46
	ds_load_u16 v39, v39 offset:512
	ds_load_u16 v40, v40 offset:512
	;; [unrolled: 1-line block ×4, first 2 shown]
	v_dual_lshrrev_b32 v48, s12, v17 :: v_dual_lshrrev_b32 v47, s12, v16
	s_mov_b64 s[0:1], 0
	s_mov_b32 s2, 0
	s_wait_dscnt 0x6
	v_dual_add_nc_u32 v18, v18, v35 :: v_dual_add_nc_u32 v19, v19, v36
	v_dual_lshlrev_b32 v35, 4, v43 :: v_dual_lshlrev_b32 v36, 4, v45
	s_wait_dscnt 0x5
	v_dual_lshrrev_b32 v43, s12, v12 :: v_dual_add_nc_u32 v20, v20, v37
	s_wait_dscnt 0x4
	v_dual_add_nc_u32 v21, v21, v38 :: v_dual_lshrrev_b32 v38, s12, v13
	v_lshrrev_b32_e32 v45, s12, v15
	s_delay_alu instid0(VALU_DEP_3) | instskip(NEXT) | instid1(VALU_DEP_3)
	v_dual_lshlrev_b32 v37, 4, v43 :: v_dual_lshrrev_b32 v43, s12, v14
	v_dual_lshlrev_b32 v47, 4, v47 :: v_dual_lshlrev_b32 v38, 4, v38
	s_wait_dscnt 0x3
	s_delay_alu instid0(VALU_DEP_3) | instskip(NEXT) | instid1(VALU_DEP_3)
	v_dual_lshlrev_b32 v45, 4, v45 :: v_dual_add_nc_u32 v22, v22, v39
	v_dual_lshlrev_b32 v43, 4, v43 :: v_dual_lshlrev_b32 v48, 4, v48
	s_wait_dscnt 0x1
	v_add_nc_u32_e32 v24, v24, v41
	v_and_or_b32 v35, 0xff0, v35, v46
	v_and_or_b32 v36, 0xff0, v36, v46
	;; [unrolled: 1-line block ×8, first 2 shown]
	ds_load_u16 v35, v35 offset:512
	ds_load_u16 v36, v36 offset:512
	;; [unrolled: 1-line block ×8, first 2 shown]
	s_wait_dscnt 0x8
	v_dual_add_nc_u32 v23, v23, v40 :: v_dual_add_nc_u32 v25, v25, v42
	s_wait_dscnt 0x0
	s_barrier_signal -1
	s_barrier_wait -1
	v_dual_add_nc_u32 v26, v26, v35 :: v_dual_add_nc_u32 v27, v27, v36
	v_dual_add_nc_u32 v28, v28, v37 :: v_dual_add_nc_u32 v29, v29, v38
	;; [unrolled: 1-line block ×4, first 2 shown]
	s_branch .LBB3_98
.LBB3_97:                               ;   in Loop: Header=BB3_98 Depth=1
	s_or_b32 exec_lo, exec_lo, s3
	v_add_nc_u32_e32 v35, 32, v44
	v_cmp_lt_u32_e32 vcc_lo, 0x1df, v44
	s_add_nc_u64 s[0:1], s[0:1], 1
	s_delay_alu instid0(VALU_DEP_2) | instskip(SKIP_1) | instid1(SALU_CYCLE_1)
	v_mov_b32_e32 v44, v35
	s_or_b32 s2, vcc_lo, s2
	s_and_not1_b32 exec_lo, exec_lo, s2
	s_cbranch_execz .LBB3_100
.LBB3_98:                               ; =>This Inner Loop Header: Depth=1
	s_delay_alu instid0(VALU_DEP_1) | instskip(SKIP_1) | instid1(VALU_DEP_1)
	v_add_nc_u32_e32 v35, v1, v44
	s_mov_b32 s3, exec_lo
	v_cmpx_gt_u32_e64 s14, v35
	s_cbranch_execz .LBB3_97
; %bb.99:                               ;   in Loop: Header=BB3_98 Depth=1
	s_mov_b32 m0, s0
	v_movrels_b32_e32 v35, v18
	v_movrels_b32_e32 v36, v2
	s_delay_alu instid0(VALU_DEP_2)
	v_lshlrev_b32_e32 v35, 2, v35
	ds_store_b32 v35, v36
	s_branch .LBB3_97
.LBB3_100:
	s_or_b32 exec_lo, exec_lo, s2
	s_mov_b32 s0, 0
	s_wait_dscnt 0x0
	s_barrier_signal -1
	s_barrier_wait -1
	s_branch .LBB3_102
.LBB3_101:                              ;   in Loop: Header=BB3_102 Depth=1
	s_wait_xcnt 0x0
	s_or_b32 exec_lo, exec_lo, s1
	v_add_nc_u32_e32 v1, 0x100, v0
	v_cmp_lt_u32_e32 vcc_lo, 0xeff, v0
	v_add_nc_u32_e32 v34, 0x400, v34
	s_delay_alu instid0(VALU_DEP_3) | instskip(SKIP_1) | instid1(SALU_CYCLE_1)
	v_mov_b32_e32 v0, v1
	s_or_b32 s0, vcc_lo, s0
	s_and_not1_b32 exec_lo, exec_lo, s0
	s_cbranch_execz .LBB3_104
.LBB3_102:                              ; =>This Inner Loop Header: Depth=1
	s_delay_alu instid0(VALU_DEP_1) | instskip(SKIP_1) | instid1(VALU_DEP_1)
	v_add_nc_u32_e32 v1, s15, v0
	s_mov_b32 s1, exec_lo
	v_cmpx_gt_u32_e64 s14, v1
	s_cbranch_execz .LBB3_101
; %bb.103:                              ;   in Loop: Header=BB3_102 Depth=1
	ds_load_b32 v1, v34
	s_wait_dscnt 0x0
	v_bfe_u32 v2, v1, s12, 8
	s_delay_alu instid0(VALU_DEP_1)
	v_lshlrev_b32_e32 v2, 2, v2
	ds_load_b32 v2, v2 offset:20480
	s_wait_dscnt 0x0
	v_add_nc_u32_e32 v2, v0, v2
	global_store_b32 v2, v1, s[6:7] scale_offset
	s_branch .LBB3_101
.LBB3_104:
	s_endpgm
	.section	.rodata,"a",@progbits
	.p2align	6, 0x0
	.amdhsa_kernel OnesweepReorderKey64
		.amdhsa_group_segment_fixed_size 21504
		.amdhsa_private_segment_fixed_size 0
		.amdhsa_kernarg_size 56
		.amdhsa_user_sgpr_count 2
		.amdhsa_user_sgpr_dispatch_ptr 0
		.amdhsa_user_sgpr_queue_ptr 0
		.amdhsa_user_sgpr_kernarg_segment_ptr 1
		.amdhsa_user_sgpr_dispatch_id 0
		.amdhsa_user_sgpr_kernarg_preload_length 0
		.amdhsa_user_sgpr_kernarg_preload_offset 0
		.amdhsa_user_sgpr_private_segment_size 0
		.amdhsa_wavefront_size32 1
		.amdhsa_uses_dynamic_stack 0
		.amdhsa_enable_private_segment 0
		.amdhsa_system_sgpr_workgroup_id_x 1
		.amdhsa_system_sgpr_workgroup_id_y 0
		.amdhsa_system_sgpr_workgroup_id_z 0
		.amdhsa_system_sgpr_workgroup_info 0
		.amdhsa_system_vgpr_workitem_id 0
		.amdhsa_next_free_vgpr 52
		.amdhsa_next_free_sgpr 19
		.amdhsa_named_barrier_count 0
		.amdhsa_reserve_vcc 1
		.amdhsa_float_round_mode_32 0
		.amdhsa_float_round_mode_16_64 0
		.amdhsa_float_denorm_mode_32 3
		.amdhsa_float_denorm_mode_16_64 3
		.amdhsa_fp16_overflow 0
		.amdhsa_memory_ordered 1
		.amdhsa_forward_progress 1
		.amdhsa_inst_pref_size 37
		.amdhsa_round_robin_scheduling 0
		.amdhsa_exception_fp_ieee_invalid_op 0
		.amdhsa_exception_fp_denorm_src 0
		.amdhsa_exception_fp_ieee_div_zero 0
		.amdhsa_exception_fp_ieee_overflow 0
		.amdhsa_exception_fp_ieee_underflow 0
		.amdhsa_exception_fp_ieee_inexact 0
		.amdhsa_exception_int_div_zero 0
	.end_amdhsa_kernel
	.text
.Lfunc_end3:
	.size	OnesweepReorderKey64, .Lfunc_end3-OnesweepReorderKey64
                                        ; -- End function
	.set OnesweepReorderKey64.num_vgpr, 52
	.set OnesweepReorderKey64.num_agpr, 0
	.set OnesweepReorderKey64.numbered_sgpr, 19
	.set OnesweepReorderKey64.num_named_barrier, 0
	.set OnesweepReorderKey64.private_seg_size, 0
	.set OnesweepReorderKey64.uses_vcc, 1
	.set OnesweepReorderKey64.uses_flat_scratch, 0
	.set OnesweepReorderKey64.has_dyn_sized_stack, 0
	.set OnesweepReorderKey64.has_recursion, 0
	.set OnesweepReorderKey64.has_indirect_call, 0
	.section	.AMDGPU.csdata,"",@progbits
; Kernel info:
; codeLenInByte = 4632
; TotalNumSgprs: 21
; NumVgprs: 52
; ScratchSize: 0
; MemoryBound: 0
; FloatMode: 240
; IeeeMode: 1
; LDSByteSize: 21504 bytes/workgroup (compile time only)
; SGPRBlocks: 0
; VGPRBlocks: 3
; NumSGPRsForWavesPerEU: 21
; NumVGPRsForWavesPerEU: 52
; NamedBarCnt: 0
; Occupancy: 16
; WaveLimiterHint : 0
; COMPUTE_PGM_RSRC2:SCRATCH_EN: 0
; COMPUTE_PGM_RSRC2:USER_SGPR: 2
; COMPUTE_PGM_RSRC2:TRAP_HANDLER: 0
; COMPUTE_PGM_RSRC2:TGID_X_EN: 1
; COMPUTE_PGM_RSRC2:TGID_Y_EN: 0
; COMPUTE_PGM_RSRC2:TGID_Z_EN: 0
; COMPUTE_PGM_RSRC2:TIDIG_COMP_CNT: 0
	.text
	.protected	OnesweepReorderKeyPair64 ; -- Begin function OnesweepReorderKeyPair64
	.globl	OnesweepReorderKeyPair64
	.p2align	8
	.type	OnesweepReorderKeyPair64,@function
OnesweepReorderKeyPair64:               ; @OnesweepReorderKeyPair64
; %bb.0:
	s_bfe_u32 s2, ttmp6, 0x4000c
	s_and_b32 s3, ttmp6, 15
	s_add_co_i32 s2, s2, 1
	s_getreg_b32 s4, hwreg(HW_REG_IB_STS2, 6, 4)
	s_mul_i32 s2, ttmp9, s2
	s_load_b32 s18, s[0:1], 0x20
	s_add_co_i32 s3, s3, s2
	s_cmp_eq_u32 s4, 0
	s_load_b256 s[4:11], s[0:1], 0x0
	v_dual_lshrrev_b32 v20, 5, v0 :: v_dual_mov_b32 v2, 0
	s_cselect_b32 s20, ttmp9, s3
	v_dual_lshlrev_b32 v45, 1, v0 :: v_dual_bitop2_b32 v44, 31, v0 bitop3:0x40
	s_lshl_b32 s19, s20, 12
	s_delay_alu instid0(VALU_DEP_2) | instskip(SKIP_3) | instid1(VALU_DEP_3)
	v_dual_mov_b32 v4, v2 :: v_dual_mov_b32 v5, v2
	v_lshl_or_b32 v1, v20, 9, s19
	v_dual_mov_b32 v3, v2 :: v_dual_mov_b32 v6, v2
	v_dual_mov_b32 v7, v2 :: v_dual_mov_b32 v8, v2
	v_dual_mov_b32 v9, v2 :: v_dual_bitop2_b32 v34, v1, v44 bitop3:0x54
	v_dual_mov_b32 v10, v2 :: v_dual_mov_b32 v11, v2
	v_dual_mov_b32 v12, v2 :: v_dual_mov_b32 v13, v2
	;; [unrolled: 1-line block ×4, first 2 shown]
	s_mov_b32 s2, exec_lo
	ds_store_b16 v45, v2 offset:512
	ds_store_b16 v45, v2 offset:1024
	ds_store_b16 v45, v2 offset:1536
	ds_store_b16 v45, v2 offset:2048
	ds_store_b16 v45, v2 offset:2560
	ds_store_b16 v45, v2 offset:3072
	ds_store_b16 v45, v2 offset:3584
	ds_store_b16 v45, v2 offset:4096
	s_wait_dscnt 0x0
	s_barrier_signal -1
	s_barrier_wait -1
	s_wait_kmcnt 0x0
	v_cmpx_gt_u32_e64 s18, v34
	s_cbranch_execz .LBB4_2
; %bb.1:
	global_load_b32 v4, v34, s[4:5] scale_offset
	v_dual_mov_b32 v5, v2 :: v_dual_mov_b32 v6, v2
	v_dual_mov_b32 v17, v2 :: v_dual_mov_b32 v18, v2
	;; [unrolled: 1-line block ×7, first 2 shown]
	v_mov_b32_e32 v16, v2
	s_wait_loadcnt 0x0
	v_mov_b64_e32 v[2:3], v[4:5]
	v_mov_b64_e32 v[4:5], v[6:7]
	;; [unrolled: 1-line block ×8, first 2 shown]
.LBB4_2:
	s_or_b32 exec_lo, exec_lo, s2
	v_or_b32_e32 v18, 32, v34
	s_mov_b32 s2, exec_lo
	s_delay_alu instid0(VALU_DEP_1)
	v_cmpx_gt_u32_e64 s18, v18
	s_cbranch_execz .LBB4_4
; %bb.3:
	global_load_b32 v3, v34, s[4:5] offset:128 scale_offset
.LBB4_4:
	s_wait_xcnt 0x0
	s_or_b32 exec_lo, exec_lo, s2
	v_or_b32_e32 v18, 64, v34
	s_mov_b32 s2, exec_lo
	s_delay_alu instid0(VALU_DEP_1)
	v_cmpx_gt_u32_e64 s18, v18
	s_cbranch_execz .LBB4_6
; %bb.5:
	global_load_b32 v4, v34, s[4:5] offset:256 scale_offset
.LBB4_6:
	s_wait_xcnt 0x0
	;; [unrolled: 10-line block ×15, first 2 shown]
	s_or_b32 exec_lo, exec_lo, s2
	s_load_b64 s[16:17], s[0:1], 0x40
	v_lshlrev_b32_e64 v19, v44, -1
	v_dual_mov_b32 v18, 0 :: v_dual_lshlrev_b32 v46, 1, v20
	s_mov_b64 s[12:13], 0
	s_delay_alu instid0(VALU_DEP_2) | instskip(NEXT) | instid1(VALU_DEP_2)
	v_not_b32_e32 v35, v19
	v_dual_mov_b32 v19, v18 :: v_dual_mov_b32 v20, v18
	v_dual_mov_b32 v21, v18 :: v_dual_mov_b32 v22, v18
	;; [unrolled: 1-line block ×7, first 2 shown]
	v_mov_b32_e32 v33, v18
	s_wait_kmcnt 0x0
	s_lshl_b32 s2, s17, 3
	s_delay_alu instid0(SALU_CYCLE_1)
	s_add_co_i32 s16, s2, s16
	s_branch .LBB4_34
.LBB4_33:                               ;   in Loop: Header=BB4_34 Depth=1
	s_or_b32 exec_lo, exec_lo, s3
	v_bitop3_b32 v36, v36, s2, vcc_lo bitop3:0x48
	s_mov_b32 m0, s12
	s_add_nc_u64 s[12:13], s[12:13], 1
	s_wait_dscnt 0x0
	s_cmp_eq_u32 s12, 16
	v_bitop3_b32 v36, v36, v38, v37 bitop3:0x80
	v_and_b32_e32 v37, 0xffff, v40
	s_barrier_signal -1
	s_barrier_wait -1
	s_delay_alu instid0(VALU_DEP_2) | instskip(SKIP_1) | instid1(VALU_DEP_2)
	v_bitop3_b32 v36, v36, v41, v39 bitop3:0x80
	v_add_nc_u32_e32 v34, 32, v34
	v_bitop3_b32 v36, v36, v43, v42 bitop3:0x80
	s_delay_alu instid0(VALU_DEP_1) | instskip(NEXT) | instid1(VALU_DEP_1)
	v_bitop3_b32 v36, v36, v35, v47 bitop3:0x80
	v_bcnt_u32_b32 v36, v36, 0
	s_delay_alu instid0(VALU_DEP_1) | instskip(NEXT) | instid1(VALU_DEP_1)
	v_add_nc_u32_e32 v36, v36, v37
	v_movreld_b32_e32 v18, v36
	s_cbranch_scc1 .LBB4_36
.LBB4_34:                               ; =>This Inner Loop Header: Depth=1
	s_mov_b32 m0, s12
	s_wait_loadcnt 0x0
	v_movrels_b32_e32 v40, v2
	s_delay_alu instid0(VALU_DEP_1) | instskip(SKIP_2) | instid1(VALU_DEP_3)
	v_bfe_u32 v36, v40, s16, 1
	v_lshrrev_b32_e32 v42, s16, v40
	v_bfe_u32 v40, v40, s16, 8
	v_add_co_u32 v36, s2, v36, -1
	s_delay_alu instid0(VALU_DEP_1) | instskip(NEXT) | instid1(VALU_DEP_4)
	v_cndmask_b32_e64 v37, 0, 1, s2
	v_bfe_u32 v38, v42, 1, 1
	s_delay_alu instid0(VALU_DEP_2) | instskip(NEXT) | instid1(VALU_DEP_2)
	v_cmp_ne_u32_e32 vcc_lo, 0, v37
	v_add_co_u32 v37, s2, v38, -1
	s_delay_alu instid0(VALU_DEP_1) | instskip(SKIP_1) | instid1(VALU_DEP_2)
	v_cndmask_b32_e64 v38, 0, 1, s2
	v_xor_b32_e32 v48, vcc_lo, v36
	v_cmp_ne_u32_e64 s3, 0, v38
	s_delay_alu instid0(VALU_DEP_1) | instskip(SKIP_3) | instid1(VALU_DEP_3)
	v_xor_b32_e32 v37, s3, v37
	v_bfe_u32 v39, v42, 2, 1
	v_bfe_u32 v41, v42, 3, 1
	;; [unrolled: 1-line block ×3, first 2 shown]
	v_add_co_u32 v39, s2, v39, -1
	s_delay_alu instid0(VALU_DEP_1) | instskip(NEXT) | instid1(VALU_DEP_4)
	v_cndmask_b32_e64 v43, 0, 1, s2
	v_add_co_u32 v41, s2, v41, -1
	s_delay_alu instid0(VALU_DEP_1) | instskip(SKIP_1) | instid1(VALU_DEP_4)
	v_cndmask_b32_e64 v47, 0, 1, s2
	v_cmp_gt_u32_e64 s2, s18, v34
	v_cmp_ne_u32_e64 s4, 0, v43
	v_bfe_u32 v43, v42, 4, 1
	s_delay_alu instid0(VALU_DEP_4) | instskip(SKIP_1) | instid1(VALU_DEP_4)
	v_cmp_ne_u32_e64 s5, 0, v47
	v_bfe_u32 v47, v42, 5, 1
	v_xor_b32_e32 v38, s4, v39
	s_delay_alu instid0(VALU_DEP_4) | instskip(NEXT) | instid1(VALU_DEP_4)
	v_add_co_u32 v43, s3, v43, -1
	v_xor_b32_e32 v39, s5, v41
	v_bitop3_b32 v41, v48, v37, s2 bitop3:0x80
	v_cndmask_b32_e64 v48, 0, 1, s3
	v_add_co_u32 v47, s3, v47, -1
	s_delay_alu instid0(VALU_DEP_1) | instskip(NEXT) | instid1(VALU_DEP_3)
	v_cndmask_b32_e64 v49, 0, 1, s3
	v_cmp_ne_u32_e64 s3, 0, v48
	v_lshlrev_b32_e32 v48, 4, v40
	v_bitop3_b32 v51, v41, v39, v38 bitop3:0x80
	s_delay_alu instid0(VALU_DEP_4) | instskip(SKIP_1) | instid1(VALU_DEP_1)
	v_cmp_ne_u32_e64 s4, 0, v49
	v_add_co_u32 v49, s5, v50, -1
	v_cndmask_b32_e64 v50, 0, 1, s5
	v_xor_b32_e32 v41, s3, v43
	v_bfe_u32 v43, v42, 7, 1
	v_xor_b32_e32 v42, s4, v47
	v_cmp_lt_u32_e64 s4, 0x7f, v40
	v_cmp_ne_u32_e64 s3, 0, v50
	s_delay_alu instid0(VALU_DEP_4) | instskip(NEXT) | instid1(VALU_DEP_4)
	v_dual_add_nc_u32 v40, -1, v43 :: v_dual_bitop2_b32 v50, v46, v48 bitop3:0x54
	v_bitop3_b32 v51, v51, v42, v41 bitop3:0x80
	s_delay_alu instid0(VALU_DEP_3) | instskip(NEXT) | instid1(VALU_DEP_3)
	v_xor_b32_e32 v43, s3, v49
	v_xor_b32_e32 v47, s4, v40
	ds_load_u16 v40, v50 offset:512
	s_wait_dscnt 0x0
	s_barrier_signal -1
	s_barrier_wait -1
	v_bitop3_b32 v49, v51, v47, v43 bitop3:0x80
	s_delay_alu instid0(VALU_DEP_1) | instskip(SKIP_1) | instid1(VALU_DEP_2)
	v_ctz_i32_b32_e32 v50, v49
	v_cmp_ne_u32_e64 s3, 0, v49
	v_cmp_eq_u32_e64 s4, v50, v44
	s_and_b32 s4, s3, s4
	s_delay_alu instid0(SALU_CYCLE_1)
	s_and_saveexec_b32 s3, s4
	s_cbranch_execz .LBB4_33
; %bb.35:                               ;   in Loop: Header=BB4_34 Depth=1
	v_bcnt_u32_b32 v49, v49, v40
	v_add_nc_u32_e32 v48, v46, v48
	ds_store_b16 v48, v49 offset:512
	s_branch .LBB4_33
.LBB4_36:
	v_cmp_gt_u32_e32 vcc_lo, 0x100, v0
	s_barrier_signal -1
	s_barrier_wait -1
	s_and_saveexec_b32 s2, vcc_lo
	s_cbranch_execz .LBB4_38
; %bb.37:
	v_lshlrev_b32_e32 v38, 4, v0
	ds_load_2addr_b32 v[34:35], v38 offset0:130 offset1:131
	ds_load_2addr_b32 v[36:37], v38 offset0:128 offset1:129
	s_wait_dscnt 0x0
	v_pk_add_u16 v35, v37, v35
	v_pk_add_u16 v34, v36, v34
	s_delay_alu instid0(VALU_DEP_1) | instskip(NEXT) | instid1(VALU_DEP_1)
	v_pk_add_u16 v34, v34, v35
	v_lshrrev_b32_e32 v35, 16, v34
	s_delay_alu instid0(VALU_DEP_1)
	v_add_nc_u16 v34, v34, v35
	v_mad_i32_i24 v35, v0, -14, v38
	ds_store_b16 v35, v34
.LBB4_38:
	s_or_b32 exec_lo, exec_lo, s2
	s_clause 0x1
	s_load_b128 s[12:15], s[0:1], 0x28
	s_load_b64 s[4:5], s[0:1], 0x38
	s_wait_xcnt 0x0
	v_cmp_eq_u32_e64 s0, 0, v0
	s_cmp_gt_u32 s20, 0x3ff
	s_cselect_b32 s1, -1, 0
	s_delay_alu instid0(SALU_CYCLE_1) | instskip(NEXT) | instid1(SALU_CYCLE_1)
	s_and_b32 s1, s0, s1
	s_and_saveexec_b32 s2, s1
	s_cbranch_execz .LBB4_43
; %bb.39:
	v_mov_b32_e32 v34, 0
	s_branch .LBB4_41
.LBB4_40:                               ;   in Loop: Header=BB4_41 Depth=1
	s_wait_xcnt 0x0
	s_or_b32 exec_lo, exec_lo, s3
	s_wait_loadcnt 0x0
	v_readfirstlane_b32 s1, v35
	s_and_not1_b32 s1, s1, 31
	s_delay_alu instid0(SALU_CYCLE_1) | instskip(NEXT) | instid1(SALU_CYCLE_1)
	s_addk_co_i32 s1, 0x3c0
	s_cmp_le_u32 s1, s20
	s_cbranch_scc0 .LBB4_43
.LBB4_41:                               ; =>This Inner Loop Header: Depth=1
	v_mbcnt_lo_u32_b32 v35, exec_lo, 0
	s_delay_alu instid0(VALU_DEP_1)
	v_cmp_eq_u32_e64 s1, 0, v35
                                        ; implicit-def: $vgpr35
	s_and_saveexec_b32 s3, s1
	s_cbranch_execz .LBB4_40
; %bb.42:                               ;   in Loop: Header=BB4_41 Depth=1
	s_wait_kmcnt 0x0
	global_load_b32 v35, v34, s[4:5] scope:SCOPE_DEV
	s_branch .LBB4_40
.LBB4_43:
	s_or_b32 exec_lo, exec_lo, s2
	s_wait_dscnt 0x0
	s_barrier_signal -1
	s_barrier_wait -1
	s_and_saveexec_b32 s3, vcc_lo
	s_cbranch_execz .LBB4_51
; %bb.44:
	ds_load_u16 v34, v45
	s_and_b32 s21, s20, 0x3fffffff
	s_lshl_b32 s1, s20, 8
	s_or_b32 s2, s21, 2.0
	v_and_or_b32 v36, 0x3ff00, s1, v0
	v_mov_b32_e32 v35, s2
	v_lshl_or_b32 v37, s17, 8, v0
	v_dual_mov_b32 v39, 0 :: v_dual_mov_b32 v47, 0
	s_delay_alu instid0(VALU_DEP_4)
	v_lshlrev_b32_e32 v38, 3, v36
                                        ; implicit-def: $sgpr1
	s_wait_dscnt 0x0
	s_wait_kmcnt 0x0
	flat_store_b64 v36, v[34:35], s[14:15] scale_offset scope:SCOPE_SYS
	s_wait_storecnt 0x0
	global_load_b32 v35, v37, s[12:13] scale_offset
	s_wait_xcnt 0x0
	v_add_nc_u64_e32 v[36:37], s[14:15], v[38:39]
	s_mov_b32 s12, 0
	s_mov_b32 s13, s20
	s_branch .LBB4_46
.LBB4_45:                               ;   in Loop: Header=BB4_46 Depth=1
                                        ; implicit-def: $sgpr13
	s_and_b32 s2, exec_lo, s1
	s_delay_alu instid0(SALU_CYCLE_1) | instskip(NEXT) | instid1(SALU_CYCLE_1)
	s_or_b32 s12, s2, s12
	s_and_not1_b32 exec_lo, exec_lo, s12
	s_cbranch_execz .LBB4_50
.LBB4_46:                               ; =>This Loop Header: Depth=1
                                        ;     Child Loop BB4_48 Depth 2
	s_or_b32 s1, s1, exec_lo
	s_cmp_lt_i32 s13, 1
	s_cbranch_scc1 .LBB4_45
; %bb.47:                               ;   in Loop: Header=BB4_46 Depth=1
	s_add_co_i32 s13, s13, -1
	s_mov_b32 s17, 0
	s_lshl_b32 s1, s13, 8
	s_delay_alu instid0(SALU_CYCLE_1) | instskip(SKIP_1) | instid1(SALU_CYCLE_1)
	v_and_or_b32 v38, 0x3ff00, s1, v0
	s_sub_co_i32 s1, s20, s13
	s_cmp_eq_u32 s1, 64
	s_cselect_b32 s22, 2, 3
	s_delay_alu instid0(VALU_DEP_1) | instskip(NEXT) | instid1(VALU_DEP_1)
	v_lshlrev_b32_e32 v38, 3, v38
	v_add_nc_u64_e32 v[40:41], s[14:15], v[38:39]
.LBB4_48:                               ;   Parent Loop BB4_46 Depth=1
                                        ; =>  This Inner Loop Header: Depth=2
	flat_load_b64 v[42:43], v[40:41] scope:SCOPE_SYS
	s_wait_loadcnt_dscnt 0x0
	v_lshrrev_b32_e32 v38, 30, v43
	v_and_b32_e32 v43, 0x3fffffff, v43
	s_delay_alu instid0(VALU_DEP_2) | instskip(NEXT) | instid1(VALU_DEP_2)
	v_and_b32_e32 v48, s22, v38
	v_cmp_eq_u32_e64 s2, s13, v43
	s_delay_alu instid0(VALU_DEP_2) | instskip(SKIP_1) | instid1(SALU_CYCLE_1)
	v_cmp_ne_u32_e64 s1, 0, v48
	s_and_b32 s1, s1, s2
	s_and_b32 s1, exec_lo, s1
	s_delay_alu instid0(SALU_CYCLE_1) | instskip(NEXT) | instid1(SALU_CYCLE_1)
	s_or_b32 s17, s1, s17
	s_and_not1_b32 exec_lo, exec_lo, s17
	s_cbranch_execnz .LBB4_48
; %bb.49:                               ;   in Loop: Header=BB4_46 Depth=1
	s_or_b32 exec_lo, exec_lo, s17
	v_add_nc_u32_e32 v47, v47, v42
	v_cmp_eq_u32_e64 s1, 2, v38
	s_and_b32 s2, exec_lo, s1
	s_delay_alu instid0(SALU_CYCLE_1) | instskip(NEXT) | instid1(SALU_CYCLE_1)
	s_or_b32 s12, s2, s12
	s_and_not1_b32 exec_lo, exec_lo, s12
	s_cbranch_execnz .LBB4_46
.LBB4_50:
	s_or_b32 exec_lo, exec_lo, s12
	s_bitset1_b32 s21, 31
	s_delay_alu instid0(SALU_CYCLE_1)
	v_dual_mov_b32 v39, s21 :: v_dual_add_nc_u32 v38, v47, v34
	s_wait_loadcnt 0x0
	v_dual_add_nc_u32 v34, v47, v35 :: v_dual_lshlrev_b32 v35, 2, v0
	flat_store_b64 v[36:37], v[38:39] scope:SCOPE_SYS
	s_wait_storecnt 0x0
	ds_store_b32 v35, v34 offset:20480
.LBB4_51:
	s_wait_xcnt 0x0
	s_or_b32 exec_lo, exec_lo, s3
; %bb.52:
	s_wait_dscnt 0x0
	s_barrier_signal -1
	s_barrier_wait -1
	s_and_saveexec_b32 s1, s0
	s_cbranch_execz .LBB4_58
; %bb.53:
	v_mov_b32_e32 v34, 0
	s_branch .LBB4_55
.LBB4_54:                               ;   in Loop: Header=BB4_55 Depth=1
	s_wait_xcnt 0x0
	s_or_b32 exec_lo, exec_lo, s2
	s_wait_loadcnt 0x0
	v_readfirstlane_b32 s0, v35
	s_xor_b32 s0, s0, s20
	s_delay_alu instid0(SALU_CYCLE_1)
	s_cmp_gt_u32 s0, 31
	s_cbranch_scc0 .LBB4_57
.LBB4_55:                               ; =>This Inner Loop Header: Depth=1
	v_mbcnt_lo_u32_b32 v35, exec_lo, 0
	s_delay_alu instid0(VALU_DEP_1)
	v_cmp_eq_u32_e64 s0, 0, v35
                                        ; implicit-def: $vgpr35
	s_and_saveexec_b32 s2, s0
	s_cbranch_execz .LBB4_54
; %bb.56:                               ;   in Loop: Header=BB4_55 Depth=1
	s_wait_kmcnt 0x0
	global_load_b32 v35, v34, s[4:5] scope:SCOPE_DEV
	s_branch .LBB4_54
.LBB4_57:
	s_add_co_i32 s0, s18, 0xfff
	s_delay_alu instid0(SALU_CYCLE_1) | instskip(NEXT) | instid1(SALU_CYCLE_1)
	s_lshr_b32 s0, s0, 12
	s_add_co_i32 s0, s0, -1
	s_delay_alu instid0(SALU_CYCLE_1)
	v_dual_mov_b32 v34, 0 :: v_dual_mov_b32 v35, s0
	s_wait_kmcnt 0x0
	global_atomic_inc_u32 v34, v35, s[4:5] scope:SCOPE_DEV
.LBB4_58:
	s_wait_xcnt 0x0
	s_or_b32 exec_lo, exec_lo, s1
	v_cmp_gt_u32_e64 s0, 0x100, v0
	v_mov_b32_e32 v34, 0
	s_wait_storecnt 0x0
	s_barrier_signal -1
	s_barrier_wait -1
	s_and_saveexec_b32 s1, s0
; %bb.59:
	ds_load_u16 v34, v45
; %bb.60:
	s_or_b32 exec_lo, exec_lo, s1
	v_or_b32_e32 v36, 0xffffff00, v0
	s_wait_dscnt 0x0
	v_mov_b32_e32 v35, v34
	s_mov_b32 s2, exec_lo
	s_delay_alu instid0(VALU_DEP_2)
	v_cmpx_lt_u32_e32 0xffffff00, v36
	s_cbranch_execz .LBB4_62
; %bb.61:
	v_add_nc_u32_e32 v35, -2, v45
	ds_load_u16 v35, v35
	s_wait_dscnt 0x0
	v_add_nc_u16 v35, v35, v34
.LBB4_62:
	s_or_b32 exec_lo, exec_lo, s2
	s_barrier_signal -1
	s_barrier_wait -1
	s_and_saveexec_b32 s1, s0
; %bb.63:
	ds_store_b16 v45, v35
; %bb.64:
	s_or_b32 exec_lo, exec_lo, s1
	s_delay_alu instid0(SALU_CYCLE_1)
	s_mov_b32 s2, exec_lo
	s_wait_dscnt 0x0
	s_barrier_signal -1
	s_barrier_wait -1
	v_cmpx_lt_u32_e32 0xffffff01, v36
	s_cbranch_execz .LBB4_66
; %bb.65:
	v_add_nc_u32_e32 v37, -4, v45
	ds_load_u16 v37, v37
	s_wait_dscnt 0x0
	v_add_nc_u16 v35, v37, v35
.LBB4_66:
	s_or_b32 exec_lo, exec_lo, s2
	s_barrier_signal -1
	s_barrier_wait -1
	s_and_saveexec_b32 s1, s0
; %bb.67:
	ds_store_b16 v45, v35
; %bb.68:
	s_or_b32 exec_lo, exec_lo, s1
	s_delay_alu instid0(SALU_CYCLE_1)
	s_mov_b32 s2, exec_lo
	s_wait_dscnt 0x0
	s_barrier_signal -1
	s_barrier_wait -1
	;; [unrolled: 21-line block ×4, first 2 shown]
	v_cmpx_lt_u32_e32 0xffffff0f, v36
	s_cbranch_execz .LBB4_78
; %bb.77:
	v_subrev_nc_u32_e32 v37, 32, v45
	ds_load_u16 v37, v37
	s_wait_dscnt 0x0
	v_add_nc_u16 v35, v37, v35
.LBB4_78:
	s_or_b32 exec_lo, exec_lo, s2
	s_barrier_signal -1
	s_barrier_wait -1
	s_and_saveexec_b32 s1, s0
; %bb.79:
	ds_store_b16 v45, v35
; %bb.80:
	s_or_b32 exec_lo, exec_lo, s1
	s_delay_alu instid0(SALU_CYCLE_1)
	s_mov_b32 s2, exec_lo
	s_wait_dscnt 0x0
	s_barrier_signal -1
	s_barrier_wait -1
	v_cmpx_lt_u32_e32 0xffffff1f, v36
	s_cbranch_execz .LBB4_82
; %bb.81:
	v_subrev_nc_u32_e32 v37, 64, v45
	ds_load_u16 v37, v37
	s_wait_dscnt 0x0
	v_add_nc_u16 v35, v37, v35
.LBB4_82:
	s_or_b32 exec_lo, exec_lo, s2
	s_barrier_signal -1
	s_barrier_wait -1
	s_and_saveexec_b32 s1, s0
; %bb.83:
	ds_store_b16 v45, v35
; %bb.84:
	s_or_b32 exec_lo, exec_lo, s1
	s_delay_alu instid0(SALU_CYCLE_1)
	s_mov_b32 s2, exec_lo
	s_wait_dscnt 0x0
	s_barrier_signal -1
	s_barrier_wait -1
	v_cmpx_lt_u32_e32 0xffffff3f, v36
	s_cbranch_execz .LBB4_86
; %bb.85:
	v_add_nc_u32_e32 v36, 0xffffff80, v45
	ds_load_u16 v36, v36
	s_wait_dscnt 0x0
	v_add_nc_u16 v35, v36, v35
.LBB4_86:
	s_or_b32 exec_lo, exec_lo, s2
	s_barrier_signal -1
	s_barrier_wait -1
	s_and_saveexec_b32 s1, s0
; %bb.87:
	ds_store_b16 v45, v35
; %bb.88:
	s_or_b32 exec_lo, exec_lo, s1
	v_and_b32_e32 v36, 0x80, v0
	s_mov_b32 s2, exec_lo
	s_wait_dscnt 0x0
	s_barrier_signal -1
	s_barrier_wait -1
	v_cmpx_ne_u32_e32 0, v36
	s_cbranch_execz .LBB4_90
; %bb.89:
	v_add_nc_u32_e32 v36, 0xffffff00, v45
	ds_load_u16 v36, v36
	s_wait_dscnt 0x0
	v_add_nc_u16 v35, v36, v35
.LBB4_90:
	s_or_b32 exec_lo, exec_lo, s2
	s_barrier_signal -1
	s_barrier_wait -1
	s_and_saveexec_b32 s1, s0
; %bb.91:
	ds_store_b16 v45, v35
; %bb.92:
	s_or_b32 exec_lo, exec_lo, s1
	s_wait_dscnt 0x0
	s_barrier_signal -1
	s_barrier_wait -1
	s_barrier_signal -1
	s_barrier_wait -1
	s_and_saveexec_b32 s1, s0
; %bb.93:
	v_sub_nc_u16 v34, v35, v34
	ds_store_b16 v45, v34
; %bb.94:
	s_or_b32 exec_lo, exec_lo, s1
	v_lshlrev_b32_e32 v34, 2, v0
	s_wait_dscnt 0x0
	s_barrier_signal -1
	s_barrier_wait -1
	s_and_saveexec_b32 s0, vcc_lo
	s_cbranch_execz .LBB4_96
; %bb.95:
	v_mad_u32_u24 v35, v0, 14, v45
	ds_load_u16 v39, v45
	ds_load_2addr_b32 v[36:37], v35 offset0:128 offset1:129
	s_wait_dscnt 0x1
	v_and_b32_e32 v43, 0xffff, v39
	s_wait_dscnt 0x0
	v_and_b32_e32 v45, 0xffff, v36
	v_lshlrev_b32_e32 v40, 2, v0
	v_lshrrev_b32_e32 v36, 16, v36
	v_and_b32_e32 v47, 0xffff, v37
	s_delay_alu instid0(VALU_DEP_4) | instskip(SKIP_4) | instid1(VALU_DEP_1)
	v_dual_lshrrev_b32 v37, 16, v37 :: v_dual_add_nc_u32 v45, v45, v43
	ds_load_b32 v38, v40 offset:20480
	ds_load_b32 v41, v35 offset:520
	ds_load_u16 v42, v35 offset:524
	v_add_nc_u32_e32 v36, v45, v36
	v_add_nc_u32_e32 v47, v36, v47
	s_wait_dscnt 0x1
	v_dual_sub_nc_u32 v43, v38, v43 :: v_dual_lshrrev_b32 v48, 16, v41
	s_delay_alu instid0(VALU_DEP_2) | instskip(SKIP_1) | instid1(VALU_DEP_2)
	v_add_nc_u32_e32 v37, v47, v37
	v_perm_b32 v36, v36, v45, 0x5040100
	v_add_nc_u16 v41, v41, v37
	v_perm_b32 v37, v37, v47, 0x5040100
	s_delay_alu instid0(VALU_DEP_2) | instskip(NEXT) | instid1(VALU_DEP_1)
	v_add_nc_u16 v48, v48, v41
	v_perm_b32 v38, v48, v41, 0x5040100
	s_wait_dscnt 0x0
	v_add_nc_u16 v41, v42, v48
	ds_store_b32 v40, v43 offset:20480
	ds_store_b16 v35, v39 offset:512
	ds_store_b96 v35, v[36:38] offset:514
	ds_store_b16 v35, v41 offset:526
.LBB4_96:
	s_or_b32 exec_lo, exec_lo, s0
	v_dual_lshrrev_b32 v35, s16, v2 :: v_dual_lshrrev_b32 v36, s16, v3
	v_dual_lshrrev_b32 v37, s16, v4 :: v_dual_lshrrev_b32 v38, s16, v5
	s_delay_alu instid0(VALU_DEP_2) | instskip(NEXT) | instid1(VALU_DEP_2)
	v_dual_lshrrev_b32 v39, s16, v6 :: v_dual_lshlrev_b32 v35, 4, v35
	v_dual_lshlrev_b32 v36, 4, v36 :: v_dual_lshlrev_b32 v37, 4, v37
	s_delay_alu instid0(VALU_DEP_2) | instskip(NEXT) | instid1(VALU_DEP_3)
	v_dual_lshlrev_b32 v38, 4, v38 :: v_dual_lshlrev_b32 v39, 4, v39
	v_and_or_b32 v35, 0xff0, v35, v46
	s_delay_alu instid0(VALU_DEP_3) | instskip(NEXT) | instid1(VALU_DEP_4)
	v_and_or_b32 v36, 0xff0, v36, v46
	v_and_or_b32 v37, 0xff0, v37, v46
	s_delay_alu instid0(VALU_DEP_4)
	v_and_or_b32 v38, 0xff0, v38, v46
	v_and_or_b32 v39, 0xff0, v39, v46
	s_wait_dscnt 0x0
	s_barrier_signal -1
	s_barrier_wait -1
	ds_load_u16 v35, v35 offset:512
	ds_load_u16 v36, v36 offset:512
	;; [unrolled: 1-line block ×5, first 2 shown]
	v_dual_lshrrev_b32 v40, s16, v7 :: v_dual_lshrrev_b32 v41, s16, v8
	v_dual_lshrrev_b32 v42, s16, v9 :: v_dual_lshrrev_b32 v43, s16, v10
	s_delay_alu instid0(VALU_DEP_2) | instskip(NEXT) | instid1(VALU_DEP_2)
	v_dual_lshrrev_b32 v45, s16, v11 :: v_dual_lshlrev_b32 v40, 4, v40
	v_dual_lshlrev_b32 v41, 4, v41 :: v_dual_lshlrev_b32 v42, 4, v42
	s_mov_b64 s[0:1], 0
	s_mov_b32 s2, 0
	s_delay_alu instid0(VALU_DEP_2) | instskip(NEXT) | instid1(VALU_DEP_2)
	v_and_or_b32 v40, 0xff0, v40, v46
	v_and_or_b32 v41, 0xff0, v41, v46
	;; [unrolled: 1-line block ×3, first 2 shown]
	ds_load_u16 v40, v40 offset:512
	ds_load_u16 v41, v41 offset:512
	;; [unrolled: 1-line block ×3, first 2 shown]
	s_wait_dscnt 0x6
	v_dual_add_nc_u32 v18, v18, v35 :: v_dual_add_nc_u32 v19, v19, v36
	s_wait_dscnt 0x5
	v_dual_add_nc_u32 v20, v20, v37 :: v_dual_lshlrev_b32 v35, 4, v43
	v_dual_lshlrev_b32 v36, 4, v45 :: v_dual_lshrrev_b32 v37, s16, v12
	s_wait_dscnt 0x3
	v_dual_add_nc_u32 v21, v21, v38 :: v_dual_add_nc_u32 v22, v22, v39
	v_dual_lshrrev_b32 v38, s16, v13 :: v_dual_lshrrev_b32 v43, s16, v15
	s_delay_alu instid0(VALU_DEP_3) | instskip(NEXT) | instid1(VALU_DEP_2)
	v_dual_lshlrev_b32 v37, 4, v37 :: v_dual_lshrrev_b32 v39, s16, v14
	v_dual_lshrrev_b32 v45, s16, v16 :: v_dual_lshlrev_b32 v38, 4, v38
	s_delay_alu instid0(VALU_DEP_3) | instskip(NEXT) | instid1(VALU_DEP_2)
	v_dual_lshlrev_b32 v43, 4, v43 :: v_dual_lshrrev_b32 v47, s16, v17
	v_dual_lshlrev_b32 v39, 4, v39 :: v_dual_lshlrev_b32 v45, 4, v45
	v_and_or_b32 v35, 0xff0, v35, v46
	v_and_or_b32 v36, 0xff0, v36, v46
	s_wait_dscnt 0x2
	v_dual_lshlrev_b32 v47, 4, v47 :: v_dual_add_nc_u32 v23, v23, v40
	v_and_or_b32 v37, 0xff0, v37, v46
	v_and_or_b32 v38, 0xff0, v38, v46
	;; [unrolled: 1-line block ×6, first 2 shown]
	ds_load_u16 v35, v35 offset:512
	ds_load_u16 v36, v36 offset:512
	;; [unrolled: 1-line block ×8, first 2 shown]
	s_wait_dscnt 0x8
	v_dual_add_nc_u32 v24, v24, v41 :: v_dual_add_nc_u32 v25, v25, v42
	s_wait_dscnt 0x0
	s_barrier_signal -1
	s_barrier_wait -1
	v_dual_add_nc_u32 v26, v26, v35 :: v_dual_add_nc_u32 v27, v27, v36
	v_dual_add_nc_u32 v28, v28, v37 :: v_dual_add_nc_u32 v29, v29, v38
	v_add_nc_u32_e32 v30, v30, v39
	v_dual_add_nc_u32 v31, v31, v43 :: v_dual_add_nc_u32 v32, v32, v45
	v_dual_add_nc_u32 v33, v33, v46 :: v_dual_mov_b32 v35, v44
	s_branch .LBB4_98
.LBB4_97:                               ;   in Loop: Header=BB4_98 Depth=1
	s_or_b32 exec_lo, exec_lo, s3
	v_add_nc_u32_e32 v36, 32, v35
	v_cmp_lt_u32_e32 vcc_lo, 0x1df, v35
	s_add_nc_u64 s[0:1], s[0:1], 1
	s_delay_alu instid0(VALU_DEP_2) | instskip(SKIP_1) | instid1(SALU_CYCLE_1)
	v_mov_b32_e32 v35, v36
	s_or_b32 s2, vcc_lo, s2
	s_and_not1_b32 exec_lo, exec_lo, s2
	s_cbranch_execz .LBB4_100
.LBB4_98:                               ; =>This Inner Loop Header: Depth=1
	s_delay_alu instid0(VALU_DEP_1) | instskip(SKIP_1) | instid1(VALU_DEP_1)
	v_add_nc_u32_e32 v36, v1, v35
	s_mov_b32 s3, exec_lo
	v_cmpx_gt_u32_e64 s18, v36
	s_cbranch_execz .LBB4_97
; %bb.99:                               ;   in Loop: Header=BB4_98 Depth=1
	s_mov_b32 m0, s0
	v_movrels_b32_e32 v36, v18
	v_movrels_b32_e32 v37, v2
	s_delay_alu instid0(VALU_DEP_2)
	v_lshlrev_b32_e32 v36, 2, v36
	ds_store_b32 v36, v37
	s_branch .LBB4_97
.LBB4_100:
	s_or_b32 exec_lo, exec_lo, s2
	v_dual_mov_b32 v35, v34 :: v_dual_mov_b32 v36, v0
	s_mov_b32 s0, 0
	s_wait_dscnt 0x0
	s_barrier_signal -1
	s_barrier_wait -1
	s_branch .LBB4_102
.LBB4_101:                              ;   in Loop: Header=BB4_102 Depth=1
	s_wait_xcnt 0x0
	s_or_b32 exec_lo, exec_lo, s1
	v_add_nc_u32_e32 v37, 0x100, v36
	v_cmp_lt_u32_e32 vcc_lo, 0xeff, v36
	s_delay_alu instid0(VALU_DEP_2) | instskip(SKIP_1) | instid1(SALU_CYCLE_1)
	v_dual_mov_b32 v36, v37 :: v_dual_add_nc_u32 v35, 0x400, v35
	s_or_b32 s0, vcc_lo, s0
	s_and_not1_b32 exec_lo, exec_lo, s0
	s_cbranch_execz .LBB4_104
.LBB4_102:                              ; =>This Inner Loop Header: Depth=1
	s_delay_alu instid0(VALU_DEP_1) | instskip(SKIP_1) | instid1(VALU_DEP_1)
	v_add_nc_u32_e32 v37, s19, v36
	s_mov_b32 s1, exec_lo
	v_cmpx_gt_u32_e64 s18, v37
	s_cbranch_execz .LBB4_101
; %bb.103:                              ;   in Loop: Header=BB4_102 Depth=1
	ds_load_b32 v37, v35
	s_wait_dscnt 0x0
	v_bfe_u32 v38, v37, s16, 8
	s_delay_alu instid0(VALU_DEP_1)
	v_lshlrev_b32_e32 v38, 2, v38
	ds_load_b32 v38, v38 offset:20480
	s_wait_dscnt 0x0
	v_add_nc_u32_e32 v38, v36, v38
	global_store_b32 v38, v37, s[6:7] scale_offset
	s_branch .LBB4_101
.LBB4_104:
	s_or_b32 exec_lo, exec_lo, s0
	s_mov_b64 s[0:1], 0
	s_mov_b32 s2, 0
	s_wait_storecnt 0x0
	s_barrier_signal -1
	s_barrier_wait -1
	s_branch .LBB4_106
.LBB4_105:                              ;   in Loop: Header=BB4_106 Depth=1
	s_wait_xcnt 0x0
	s_or_b32 exec_lo, exec_lo, s3
	v_add_nc_u32_e32 v35, 32, v44
	v_cmp_lt_u32_e32 vcc_lo, 0x1df, v44
	s_add_nc_u64 s[0:1], s[0:1], 1
	s_delay_alu instid0(VALU_DEP_2) | instskip(SKIP_1) | instid1(SALU_CYCLE_1)
	v_mov_b32_e32 v44, v35
	s_or_b32 s2, vcc_lo, s2
	s_and_not1_b32 exec_lo, exec_lo, s2
	s_cbranch_execz .LBB4_108
.LBB4_106:                              ; =>This Inner Loop Header: Depth=1
	s_delay_alu instid0(VALU_DEP_1) | instskip(SKIP_1) | instid1(VALU_DEP_1)
	v_add_nc_u32_e32 v35, v1, v44
	s_mov_b32 s3, exec_lo
	v_cmpx_gt_u32_e64 s18, v35
	s_cbranch_execz .LBB4_105
; %bb.107:                              ;   in Loop: Header=BB4_106 Depth=1
	global_load_b32 v35, v35, s[8:9] scale_offset
	s_mov_b32 m0, s0
	v_movrels_b32_e32 v36, v18
	v_movrels_b32_e32 v37, v2
	s_delay_alu instid0(VALU_DEP_1)
	v_dual_lshlrev_b32 v38, 2, v36 :: v_dual_lshrrev_b32 v37, s16, v37
	s_wait_loadcnt 0x0
	ds_store_b32 v38, v35
	ds_store_b8 v36, v37 offset:16384
	s_branch .LBB4_105
.LBB4_108:
	s_or_b32 exec_lo, exec_lo, s2
	s_mov_b32 s0, 0
	s_wait_dscnt 0x0
	s_barrier_signal -1
	s_barrier_wait -1
	s_branch .LBB4_110
.LBB4_109:                              ;   in Loop: Header=BB4_110 Depth=1
	s_wait_xcnt 0x0
	s_or_b32 exec_lo, exec_lo, s1
	v_add_nc_u32_e32 v1, 0x100, v0
	v_cmp_lt_u32_e32 vcc_lo, 0xeff, v0
	v_add_nc_u32_e32 v34, 0x400, v34
	s_delay_alu instid0(VALU_DEP_3) | instskip(SKIP_1) | instid1(SALU_CYCLE_1)
	v_mov_b32_e32 v0, v1
	s_or_b32 s0, vcc_lo, s0
	s_and_not1_b32 exec_lo, exec_lo, s0
	s_cbranch_execz .LBB4_112
.LBB4_110:                              ; =>This Inner Loop Header: Depth=1
	s_delay_alu instid0(VALU_DEP_1) | instskip(SKIP_1) | instid1(VALU_DEP_1)
	v_add_nc_u32_e32 v1, s19, v0
	s_mov_b32 s1, exec_lo
	v_cmpx_gt_u32_e64 s18, v1
	s_cbranch_execz .LBB4_109
; %bb.111:                              ;   in Loop: Header=BB4_110 Depth=1
	ds_load_u8 v1, v0 offset:16384
	s_wait_dscnt 0x0
	v_lshlrev_b32_e32 v1, 2, v1
	ds_load_b32 v1, v1 offset:20480
	ds_load_b32 v2, v34
	s_wait_dscnt 0x1
	v_add_nc_u32_e32 v1, v0, v1
	s_wait_dscnt 0x0
	global_store_b32 v1, v2, s[10:11] scale_offset
	s_branch .LBB4_109
.LBB4_112:
	s_endpgm
	.section	.rodata,"a",@progbits
	.p2align	6, 0x0
	.amdhsa_kernel OnesweepReorderKeyPair64
		.amdhsa_group_segment_fixed_size 21504
		.amdhsa_private_segment_fixed_size 0
		.amdhsa_kernarg_size 72
		.amdhsa_user_sgpr_count 2
		.amdhsa_user_sgpr_dispatch_ptr 0
		.amdhsa_user_sgpr_queue_ptr 0
		.amdhsa_user_sgpr_kernarg_segment_ptr 1
		.amdhsa_user_sgpr_dispatch_id 0
		.amdhsa_user_sgpr_kernarg_preload_length 0
		.amdhsa_user_sgpr_kernarg_preload_offset 0
		.amdhsa_user_sgpr_private_segment_size 0
		.amdhsa_wavefront_size32 1
		.amdhsa_uses_dynamic_stack 0
		.amdhsa_enable_private_segment 0
		.amdhsa_system_sgpr_workgroup_id_x 1
		.amdhsa_system_sgpr_workgroup_id_y 0
		.amdhsa_system_sgpr_workgroup_id_z 0
		.amdhsa_system_sgpr_workgroup_info 0
		.amdhsa_system_vgpr_workitem_id 0
		.amdhsa_next_free_vgpr 52
		.amdhsa_next_free_sgpr 23
		.amdhsa_named_barrier_count 0
		.amdhsa_reserve_vcc 1
		.amdhsa_float_round_mode_32 0
		.amdhsa_float_round_mode_16_64 0
		.amdhsa_float_denorm_mode_32 3
		.amdhsa_float_denorm_mode_16_64 3
		.amdhsa_fp16_overflow 0
		.amdhsa_memory_ordered 1
		.amdhsa_forward_progress 1
		.amdhsa_inst_pref_size 39
		.amdhsa_round_robin_scheduling 0
		.amdhsa_exception_fp_ieee_invalid_op 0
		.amdhsa_exception_fp_denorm_src 0
		.amdhsa_exception_fp_ieee_div_zero 0
		.amdhsa_exception_fp_ieee_overflow 0
		.amdhsa_exception_fp_ieee_underflow 0
		.amdhsa_exception_fp_ieee_inexact 0
		.amdhsa_exception_int_div_zero 0
	.end_amdhsa_kernel
	.text
.Lfunc_end4:
	.size	OnesweepReorderKeyPair64, .Lfunc_end4-OnesweepReorderKeyPair64
                                        ; -- End function
	.set OnesweepReorderKeyPair64.num_vgpr, 52
	.set OnesweepReorderKeyPair64.num_agpr, 0
	.set OnesweepReorderKeyPair64.numbered_sgpr, 23
	.set OnesweepReorderKeyPair64.num_named_barrier, 0
	.set OnesweepReorderKeyPair64.private_seg_size, 0
	.set OnesweepReorderKeyPair64.uses_vcc, 1
	.set OnesweepReorderKeyPair64.uses_flat_scratch, 0
	.set OnesweepReorderKeyPair64.has_dyn_sized_stack, 0
	.set OnesweepReorderKeyPair64.has_recursion, 0
	.set OnesweepReorderKeyPair64.has_indirect_call, 0
	.section	.AMDGPU.csdata,"",@progbits
; Kernel info:
; codeLenInByte = 4972
; TotalNumSgprs: 25
; NumVgprs: 52
; ScratchSize: 0
; MemoryBound: 0
; FloatMode: 240
; IeeeMode: 1
; LDSByteSize: 21504 bytes/workgroup (compile time only)
; SGPRBlocks: 0
; VGPRBlocks: 3
; NumSGPRsForWavesPerEU: 25
; NumVGPRsForWavesPerEU: 52
; NamedBarCnt: 0
; Occupancy: 16
; WaveLimiterHint : 0
; COMPUTE_PGM_RSRC2:SCRATCH_EN: 0
; COMPUTE_PGM_RSRC2:USER_SGPR: 2
; COMPUTE_PGM_RSRC2:TRAP_HANDLER: 0
; COMPUTE_PGM_RSRC2:TGID_X_EN: 1
; COMPUTE_PGM_RSRC2:TGID_Y_EN: 0
; COMPUTE_PGM_RSRC2:TGID_Z_EN: 0
; COMPUTE_PGM_RSRC2:TIDIG_COMP_CNT: 0
	.text
	.p2alignl 7, 3214868480
	.fill 96, 4, 3214868480
	.section	.AMDGPU.gpr_maximums,"",@progbits
	.set amdgpu.max_num_vgpr, 0
	.set amdgpu.max_num_agpr, 0
	.set amdgpu.max_num_sgpr, 0
	.text
	.type	__hip_cuid_98787fffca91f308,@object ; @__hip_cuid_98787fffca91f308
	.section	.bss,"aw",@nobits
	.globl	__hip_cuid_98787fffca91f308
__hip_cuid_98787fffca91f308:
	.byte	0                               ; 0x0
	.size	__hip_cuid_98787fffca91f308, 1

	.ident	"AMD clang version 22.0.0git (https://github.com/RadeonOpenCompute/llvm-project roc-7.2.4 26084 f58b06dce1f9c15707c5f808fd002e18c2accf7e)"
	.section	".note.GNU-stack","",@progbits
	.addrsig
	.addrsig_sym __hip_cuid_98787fffca91f308
	.amdgpu_metadata
---
amdhsa.kernels:
  - .args:
      - .address_space:  global
        .offset:         0
        .size:           8
        .value_kind:     global_buffer
      - .address_space:  global
        .offset:         8
        .size:           8
        .value_kind:     global_buffer
      - .offset:         16
        .size:           4
        .value_kind:     by_value
      - .offset:         20
        .size:           4
        .value_kind:     by_value
      - .offset:         24
        .size:           4
        .value_kind:     by_value
    .group_segment_fixed_size: 17456
    .kernarg_segment_align: 8
    .kernarg_segment_size: 28
    .language:       OpenCL C
    .language_version:
      - 2
      - 0
    .max_flat_workgroup_size: 1024
    .name:           SortSinglePassKernel
    .private_segment_fixed_size: 36
    .sgpr_count:     44
    .sgpr_spill_count: 0
    .symbol:         SortSinglePassKernel.kd
    .uniform_work_group_size: 1
    .uses_dynamic_stack: false
    .vgpr_count:     128
    .vgpr_spill_count: 8
    .wavefront_size: 32
  - .args:
      - .address_space:  global
        .offset:         0
        .size:           8
        .value_kind:     global_buffer
      - .address_space:  global
        .offset:         8
        .size:           8
        .value_kind:     global_buffer
      - .address_space:  global
        .offset:         16
        .size:           8
        .value_kind:     global_buffer
      - .address_space:  global
        .offset:         24
        .size:           8
        .value_kind:     global_buffer
      - .offset:         32
        .size:           4
        .value_kind:     by_value
      - .offset:         36
        .size:           4
        .value_kind:     by_value
      - .offset:         40
        .size:           4
        .value_kind:     by_value
    .group_segment_fixed_size: 29744
    .kernarg_segment_align: 8
    .kernarg_segment_size: 44
    .language:       OpenCL C
    .language_version:
      - 2
      - 0
    .max_flat_workgroup_size: 1024
    .name:           SortSinglePassKVKernel
    .private_segment_fixed_size: 140
    .sgpr_count:     49
    .sgpr_spill_count: 0
    .symbol:         SortSinglePassKVKernel.kd
    .uniform_work_group_size: 1
    .uses_dynamic_stack: false
    .vgpr_count:     128
    .vgpr_spill_count: 54
    .wavefront_size: 32
  - .args:
      - .address_space:  global
        .offset:         0
        .size:           8
        .value_kind:     global_buffer
      - .offset:         8
        .size:           4
        .value_kind:     by_value
      - .address_space:  global
        .offset:         16
        .size:           8
        .value_kind:     global_buffer
      - .offset:         24
        .size:           4
        .value_kind:     by_value
      - .address_space:  global
        .offset:         32
        .size:           8
        .value_kind:     global_buffer
    .group_segment_fixed_size: 4100
    .kernarg_segment_align: 8
    .kernarg_segment_size: 40
    .language:       OpenCL C
    .language_version:
      - 2
      - 0
    .max_flat_workgroup_size: 1024
    .name:           GHistogram
    .private_segment_fixed_size: 0
    .sgpr_count:     17
    .sgpr_spill_count: 0
    .symbol:         GHistogram.kd
    .uniform_work_group_size: 1
    .uses_dynamic_stack: false
    .vgpr_count:     10
    .vgpr_spill_count: 0
    .wavefront_size: 32
  - .args:
      - .address_space:  global
        .offset:         0
        .size:           8
        .value_kind:     global_buffer
      - .address_space:  global
        .offset:         8
        .size:           8
        .value_kind:     global_buffer
      - .offset:         16
        .size:           4
        .value_kind:     by_value
      - .address_space:  global
        .offset:         24
        .size:           8
        .value_kind:     global_buffer
      - .address_space:  global
        .offset:         32
        .size:           8
        .value_kind:     global_buffer
      - .address_space:  global
        .offset:         40
        .size:           8
        .value_kind:     global_buffer
      - .offset:         48
        .size:           4
        .value_kind:     by_value
      - .offset:         52
        .size:           4
        .value_kind:     by_value
    .group_segment_fixed_size: 21504
    .kernarg_segment_align: 8
    .kernarg_segment_size: 56
    .language:       OpenCL C
    .language_version:
      - 2
      - 0
    .max_flat_workgroup_size: 256
    .name:           OnesweepReorderKey64
    .private_segment_fixed_size: 0
    .sgpr_count:     21
    .sgpr_spill_count: 0
    .symbol:         OnesweepReorderKey64.kd
    .uniform_work_group_size: 1
    .uses_dynamic_stack: false
    .vgpr_count:     52
    .vgpr_spill_count: 0
    .wavefront_size: 32
  - .args:
      - .address_space:  global
        .offset:         0
        .size:           8
        .value_kind:     global_buffer
      - .address_space:  global
        .offset:         8
        .size:           8
        .value_kind:     global_buffer
      - .address_space:  global
        .offset:         16
        .size:           8
        .value_kind:     global_buffer
      - .address_space:  global
        .offset:         24
        .size:           8
        .value_kind:     global_buffer
      - .offset:         32
        .size:           4
        .value_kind:     by_value
      - .address_space:  global
        .offset:         40
        .size:           8
        .value_kind:     global_buffer
      - .address_space:  global
        .offset:         48
        .size:           8
        .value_kind:     global_buffer
      - .address_space:  global
        .offset:         56
        .size:           8
        .value_kind:     global_buffer
      - .offset:         64
        .size:           4
        .value_kind:     by_value
      - .offset:         68
        .size:           4
        .value_kind:     by_value
    .group_segment_fixed_size: 21504
    .kernarg_segment_align: 8
    .kernarg_segment_size: 72
    .language:       OpenCL C
    .language_version:
      - 2
      - 0
    .max_flat_workgroup_size: 256
    .name:           OnesweepReorderKeyPair64
    .private_segment_fixed_size: 0
    .sgpr_count:     25
    .sgpr_spill_count: 0
    .symbol:         OnesweepReorderKeyPair64.kd
    .uniform_work_group_size: 1
    .uses_dynamic_stack: false
    .vgpr_count:     52
    .vgpr_spill_count: 0
    .wavefront_size: 32
amdhsa.target:   amdgcn-amd-amdhsa--gfx1250
amdhsa.version:
  - 1
  - 2
...

	.end_amdgpu_metadata
